;; amdgpu-corpus repo=ROCm/rocFFT kind=compiled arch=gfx950 opt=O3
	.text
	.amdgcn_target "amdgcn-amd-amdhsa--gfx950"
	.amdhsa_code_object_version 6
	.protected	bluestein_single_back_len165_dim1_dp_op_CI_CI ; -- Begin function bluestein_single_back_len165_dim1_dp_op_CI_CI
	.globl	bluestein_single_back_len165_dim1_dp_op_CI_CI
	.p2align	8
	.type	bluestein_single_back_len165_dim1_dp_op_CI_CI,@function
bluestein_single_back_len165_dim1_dp_op_CI_CI: ; @bluestein_single_back_len165_dim1_dp_op_CI_CI
; %bb.0:
	s_load_dwordx4 s[12:15], s[0:1], 0x28
	v_mul_u32_u24_e32 v1, 0x1746, v0
	v_lshrrev_b32_e32 v2, 16, v1
	v_mad_u64_u32 v[212:213], s[2:3], s2, 5, v[2:3]
	v_mov_b32_e32 v209, 0
	v_mov_b32_e32 v213, v209
	s_waitcnt lgkmcnt(0)
	v_cmp_gt_u64_e32 vcc, s[12:13], v[212:213]
	s_and_saveexec_b64 s[2:3], vcc
	s_cbranch_execz .LBB0_15
; %bb.1:
	s_load_dwordx4 s[4:7], s[0:1], 0x18
	s_load_dwordx2 s[12:13], s[0:1], 0x0
	v_mul_lo_u16_e32 v1, 11, v2
	v_sub_u16_e32 v208, v0, v1
	v_mov_b32_e32 v4, s14
	s_waitcnt lgkmcnt(0)
	s_load_dwordx4 s[8:11], s[4:5], 0x0
	v_mov_b32_e32 v5, s15
	v_lshlrev_b32_e32 v52, 4, v208
	global_load_dwordx4 v[96:99], v52, s[12:13]
	s_mov_b32 s4, 0xcccccccd
	s_waitcnt lgkmcnt(0)
	v_mad_u64_u32 v[0:1], s[2:3], s10, v212, 0
	v_mov_b32_e32 v2, v1
	v_mad_u64_u32 v[2:3], s[2:3], s11, v212, v[2:3]
	v_mov_b32_e32 v1, v2
	;; [unrolled: 2-line block ×3, first 2 shown]
	v_mad_u64_u32 v[6:7], s[2:3], s9, v208, v[6:7]
	s_mul_i32 s2, s9, 15
	s_mul_hi_u32 s3, s8, 15
	v_mov_b32_e32 v3, v6
	v_lshl_add_u64 v[64:65], v[0:1], 4, v[4:5]
	s_add_i32 s3, s3, s2
	s_mul_i32 s2, s8, 15
	v_lshl_add_u64 v[4:5], v[2:3], 4, v[64:65]
	s_lshl_b64 s[10:11], s[2:3], 4
	global_load_dwordx4 v[44:47], v[4:5], off
	v_lshl_add_u64 v[4:5], v[4:5], 0, s[10:11]
	global_load_dwordx4 v[48:51], v[4:5], off
	global_load_dwordx4 v[40:43], v52, s[12:13] offset:240
	v_lshl_add_u64 v[8:9], v[4:5], 0, s[10:11]
	global_load_dwordx4 v[2:5], v52, s[12:13] offset:480
	global_load_dwordx4 v[56:59], v[8:9], off
	v_lshl_add_u64 v[8:9], v[8:9], 0, s[10:11]
	global_load_dwordx4 v[60:63], v[8:9], off
	global_load_dwordx4 v[36:39], v52, s[12:13] offset:720
	v_lshl_add_u64 v[8:9], v[8:9], 0, s[10:11]
	global_load_dwordx4 v[66:69], v[8:9], off
	global_load_dwordx4 v[12:15], v52, s[12:13] offset:960
	;; [unrolled: 3-line block ×4, first 2 shown]
	global_load_dwordx4 v[24:27], v52, s[12:13] offset:1680
	v_lshl_add_u64 v[16:17], v[16:17], 0, s[10:11]
	global_load_dwordx4 v[78:81], v[16:17], off
	v_lshl_add_u64 v[32:33], v[16:17], 0, s[10:11]
	global_load_dwordx4 v[82:85], v[32:33], off
	global_load_dwordx4 v[16:19], v52, s[12:13] offset:1920
	global_load_dwordx4 v[20:23], v52, s[12:13] offset:2160
	v_lshl_add_u64 v[54:55], v[32:33], 0, s[10:11]
	global_load_dwordx4 v[86:89], v[54:55], off
	global_load_dwordx4 v[32:35], v52, s[12:13] offset:2400
	v_lshl_add_u64 v[54:55], v[54:55], 0, s[10:11]
	global_load_dwordx4 v[90:93], v[54:55], off
	v_mul_hi_u32 v0, v212, s4
	v_lshrrev_b32_e32 v0, 2, v0
	v_lshl_add_u32 v0, v0, 2, v0
	v_sub_u32_e32 v0, v212, v0
	v_mul_u32_u24_e32 v0, 0xa5, v0
	v_mov_b32_e32 v53, v209
	v_lshlrev_b32_e32 v6, 4, v0
	v_lshl_add_u64 v[210:211], s[12:13], 0, v[52:53]
	v_add_u32_e32 v213, v52, v6
	s_load_dwordx2 s[2:3], s[0:1], 0x38
	v_or_b32_e32 v0, 56, v208
	s_load_dwordx4 s[4:7], s[6:7], 0x0
	v_cmp_gt_u16_e32 vcc, 4, v208
	v_accvgpr_write_b32 a0, v0
	s_waitcnt vmcnt(21)
	v_accvgpr_write_b32 a2, v96
	v_accvgpr_write_b32 a3, v97
	;; [unrolled: 1-line block ×4, first 2 shown]
	s_waitcnt vmcnt(20)
	v_mul_f64 v[94:95], v[46:47], v[98:99]
	v_mul_f64 v[52:53], v[44:45], v[98:99]
	v_fmac_f64_e32 v[94:95], v[44:45], v[96:97]
	v_fma_f64 v[96:97], v[46:47], v[96:97], -v[52:53]
	s_waitcnt vmcnt(18)
	v_mul_f64 v[44:45], v[50:51], v[42:43]
	v_mul_f64 v[46:47], v[48:49], v[42:43]
	v_fmac_f64_e32 v[44:45], v[48:49], v[40:41]
	v_fma_f64 v[46:47], v[50:51], v[40:41], -v[46:47]
	ds_write_b128 v213, v[44:47] offset:240
	s_waitcnt vmcnt(14)
	v_mul_f64 v[44:45], v[62:63], v[38:39]
	v_mul_f64 v[46:47], v[60:61], v[38:39]
	v_fmac_f64_e32 v[44:45], v[60:61], v[36:37]
	v_fma_f64 v[46:47], v[62:63], v[36:37], -v[46:47]
	ds_write_b128 v213, v[44:47] offset:720
	;; [unrolled: 6-line block ×3, first 2 shown]
	s_waitcnt vmcnt(6)
	v_mul_f64 v[44:45], v[80:81], v[26:27]
	v_mul_f64 v[46:47], v[78:79], v[26:27]
	v_fmac_f64_e32 v[44:45], v[78:79], v[24:25]
	v_fma_f64 v[46:47], v[80:81], v[24:25], -v[46:47]
	v_mul_f64 v[48:49], v[58:59], v[4:5]
	v_mul_f64 v[50:51], v[56:57], v[4:5]
	ds_write_b128 v213, v[44:47] offset:1680
	s_waitcnt vmcnt(4)
	v_mul_f64 v[44:45], v[84:85], v[18:19]
	v_mul_f64 v[46:47], v[82:83], v[18:19]
	v_fmac_f64_e32 v[48:49], v[56:57], v[2:3]
	v_fma_f64 v[50:51], v[58:59], v[2:3], -v[50:51]
	v_fmac_f64_e32 v[44:45], v[82:83], v[16:17]
	v_fma_f64 v[46:47], v[84:85], v[16:17], -v[46:47]
	ds_write_b128 v213, v[48:51] offset:480
	v_mul_f64 v[48:49], v[68:69], v[14:15]
	v_mul_f64 v[50:51], v[66:67], v[14:15]
	ds_write_b128 v213, v[44:47] offset:1920
	s_waitcnt vmcnt(2)
	v_mul_f64 v[44:45], v[88:89], v[22:23]
	v_mul_f64 v[46:47], v[86:87], v[22:23]
	v_fmac_f64_e32 v[48:49], v[66:67], v[12:13]
	v_fma_f64 v[50:51], v[68:69], v[12:13], -v[50:51]
	v_fmac_f64_e32 v[44:45], v[86:87], v[20:21]
	v_fma_f64 v[46:47], v[88:89], v[20:21], -v[46:47]
	v_accvgpr_write_b32 a9, v5
	ds_write_b128 v213, v[48:51] offset:960
	v_mul_f64 v[48:49], v[76:77], v[10:11]
	v_mul_f64 v[50:51], v[74:75], v[10:11]
	ds_write_b128 v213, v[44:47] offset:2160
	s_waitcnt vmcnt(0)
	v_mul_f64 v[44:45], v[92:93], v[34:35]
	v_mul_f64 v[46:47], v[90:91], v[34:35]
	v_accvgpr_write_b32 a8, v4
	v_accvgpr_write_b32 a7, v3
	;; [unrolled: 1-line block ×3, first 2 shown]
	v_fmac_f64_e32 v[48:49], v[74:75], v[8:9]
	v_fma_f64 v[50:51], v[76:77], v[8:9], -v[50:51]
	v_fmac_f64_e32 v[44:45], v[90:91], v[32:33]
	v_fma_f64 v[46:47], v[92:93], v[32:33], -v[46:47]
	ds_write_b128 v213, v[94:97]
	ds_write_b128 v213, v[48:51] offset:1440
	ds_write_b128 v213, v[44:47] offset:2400
	s_and_saveexec_b64 s[14:15], vcc
	s_cbranch_execz .LBB0_3
; %bb.2:
	v_mov_b32_e32 v0, 0xfffff750
	v_mad_u64_u32 v[48:49], s[16:17], s8, v0, v[54:55]
	s_mul_i32 s16, s9, 0xfffff750
	s_sub_i32 s16, s16, s8
	v_accvgpr_read_b32 v0, a0
	v_add_u32_e32 v49, s16, v49
	v_mad_u64_u32 v[66:67], s[16:17], s8, v0, 0
	v_lshl_add_u64 v[60:61], v[48:49], 0, s[10:11]
	v_mov_b32_e32 v68, v67
	global_load_dwordx4 v[44:47], v[48:49], off
	v_lshl_add_u64 v[78:79], v[60:61], 0, s[10:11]
	v_mad_u64_u32 v[68:69], s[16:17], s9, v0, v[68:69]
	v_mov_b32_e32 v0, 0x1e0
	global_load_dwordx4 v[48:51], v[60:61], off
	global_load_dwordx4 v[56:59], v[210:211], off offset:176
	global_load_dwordx4 v[52:55], v[210:211], off offset:416
	v_mov_b32_e32 v67, v68
	v_mad_u64_u32 v[82:83], s[16:17], s8, v0, v[78:79]
	s_mul_i32 s18, s9, 0x1e0
	v_or_b32_e32 v1, 0x74, v208
	v_lshl_add_u64 v[80:81], v[66:67], 4, v[64:65]
	v_add_u32_e32 v83, s18, v83
	v_mad_u64_u32 v[102:103], s[16:17], s8, v1, 0
	global_load_dwordx4 v[60:63], v[78:79], off
	global_load_dwordx4 v[66:69], v[210:211], off offset:656
	global_load_dwordx4 v[70:73], v[80:81], off
	global_load_dwordx4 v[74:77], v[210:211], off offset:896
	v_lshl_add_u64 v[94:95], v[82:83], 0, s[10:11]
	global_load_dwordx4 v[78:81], v[82:83], off
	v_mov_b32_e32 v104, v103
	v_lshl_add_u64 v[110:111], v[94:95], 0, s[10:11]
	v_mad_u64_u32 v[104:105], s[16:17], s9, v1, v[104:105]
	global_load_dwordx4 v[82:85], v[210:211], off offset:1136
	global_load_dwordx4 v[86:89], v[94:95], off
	global_load_dwordx4 v[90:93], v[210:211], off offset:1376
	global_load_dwordx4 v[98:101], v[210:211], off offset:1616
	v_mov_b32_e32 v103, v104
	global_load_dwordx4 v[94:97], v[110:111], off
	v_lshl_add_u64 v[64:65], v[102:103], 4, v[64:65]
	global_load_dwordx4 v[102:105], v[64:65], off
	global_load_dwordx4 v[106:109], v[210:211], off offset:1856
	v_mad_u64_u32 v[64:65], s[8:9], s8, v0, v[110:111]
	v_add_u32_e32 v65, s18, v65
	global_load_dwordx4 v[110:113], v[64:65], off
	global_load_dwordx4 v[114:117], v[210:211], off offset:2096
	v_lshl_add_u64 v[64:65], v[64:65], 0, s[10:11]
	global_load_dwordx4 v[118:121], v[64:65], off
	global_load_dwordx4 v[122:125], v[210:211], off offset:2336
	v_lshl_add_u64 v[64:65], v[64:65], 0, s[10:11]
	global_load_dwordx4 v[126:129], v[210:211], off offset:2576
	global_load_dwordx4 v[130:133], v[64:65], off
	s_waitcnt vmcnt(19)
	v_mul_f64 v[134:135], v[46:47], v[58:59]
	v_mul_f64 v[58:59], v[44:45], v[58:59]
	v_fmac_f64_e32 v[134:135], v[44:45], v[56:57]
	v_fma_f64 v[136:137], v[46:47], v[56:57], -v[58:59]
	s_waitcnt vmcnt(18)
	v_mul_f64 v[44:45], v[50:51], v[54:55]
	v_mul_f64 v[46:47], v[48:49], v[54:55]
	v_fmac_f64_e32 v[44:45], v[48:49], v[52:53]
	v_fma_f64 v[46:47], v[50:51], v[52:53], -v[46:47]
	ds_write_b128 v213, v[44:47] offset:416
	ds_write_b128 v213, v[134:137] offset:176
	s_waitcnt vmcnt(16)
	v_mul_f64 v[48:49], v[62:63], v[68:69]
	v_mul_f64 v[50:51], v[60:61], v[68:69]
	s_waitcnt vmcnt(14)
	v_mul_f64 v[52:53], v[72:73], v[76:77]
	v_mul_f64 v[54:55], v[70:71], v[76:77]
	v_fmac_f64_e32 v[48:49], v[60:61], v[66:67]
	v_fma_f64 v[50:51], v[62:63], v[66:67], -v[50:51]
	s_waitcnt vmcnt(12)
	v_mul_f64 v[44:45], v[80:81], v[84:85]
	v_mul_f64 v[46:47], v[78:79], v[84:85]
	v_fmac_f64_e32 v[44:45], v[78:79], v[82:83]
	v_fma_f64 v[46:47], v[80:81], v[82:83], -v[46:47]
	v_fmac_f64_e32 v[52:53], v[70:71], v[74:75]
	v_fma_f64 v[54:55], v[72:73], v[74:75], -v[54:55]
	ds_write_b128 v213, v[48:51] offset:656
	ds_write_b128 v213, v[52:55] offset:896
	;; [unrolled: 1-line block ×3, first 2 shown]
	s_waitcnt vmcnt(8)
	v_mul_f64 v[44:45], v[96:97], v[100:101]
	v_mul_f64 v[46:47], v[94:95], v[100:101]
	v_fmac_f64_e32 v[44:45], v[94:95], v[98:99]
	v_fma_f64 v[46:47], v[96:97], v[98:99], -v[46:47]
	ds_write_b128 v213, v[44:47] offset:1616
	s_waitcnt vmcnt(6)
	v_mul_f64 v[44:45], v[104:105], v[108:109]
	v_mul_f64 v[46:47], v[102:103], v[108:109]
	v_fmac_f64_e32 v[44:45], v[102:103], v[106:107]
	v_fma_f64 v[46:47], v[104:105], v[106:107], -v[46:47]
	ds_write_b128 v213, v[44:47] offset:1856
	;; [unrolled: 6-line block ×3, first 2 shown]
	s_waitcnt vmcnt(2)
	v_mul_f64 v[44:45], v[120:121], v[124:125]
	v_mul_f64 v[46:47], v[118:119], v[124:125]
	v_fmac_f64_e32 v[44:45], v[118:119], v[122:123]
	v_fma_f64 v[46:47], v[120:121], v[122:123], -v[46:47]
	v_mul_f64 v[48:49], v[88:89], v[92:93]
	v_mul_f64 v[50:51], v[86:87], v[92:93]
	ds_write_b128 v213, v[44:47] offset:2336
	s_waitcnt vmcnt(0)
	v_mul_f64 v[44:45], v[132:133], v[128:129]
	v_mul_f64 v[46:47], v[130:131], v[128:129]
	v_fmac_f64_e32 v[48:49], v[86:87], v[90:91]
	v_fma_f64 v[50:51], v[88:89], v[90:91], -v[50:51]
	v_fmac_f64_e32 v[44:45], v[130:131], v[126:127]
	v_fma_f64 v[46:47], v[132:133], v[126:127], -v[46:47]
	ds_write_b128 v213, v[48:51] offset:1376
	ds_write_b128 v213, v[44:47] offset:2576
.LBB0_3:
	s_or_b64 exec, exec, s[14:15]
	s_waitcnt lgkmcnt(0)
	; wave barrier
	s_waitcnt lgkmcnt(0)
	ds_read_b128 v[120:123], v213
	ds_read_b128 v[128:131], v213 offset:240
	ds_read_b128 v[68:71], v213 offset:480
	;; [unrolled: 1-line block ×10, first 2 shown]
	s_load_dwordx2 s[8:9], s[0:1], 0x8
                                        ; implicit-def: $vgpr72_vgpr73
                                        ; implicit-def: $vgpr76_vgpr77
                                        ; implicit-def: $vgpr80_vgpr81
                                        ; implicit-def: $vgpr84_vgpr85
                                        ; implicit-def: $vgpr88_vgpr89
                                        ; implicit-def: $vgpr92_vgpr93
                                        ; implicit-def: $vgpr96_vgpr97
                                        ; implicit-def: $vgpr100_vgpr101
                                        ; implicit-def: $vgpr104_vgpr105
                                        ; implicit-def: $vgpr108_vgpr109
                                        ; implicit-def: $vgpr112_vgpr113
	s_and_saveexec_b64 s[0:1], vcc
	s_cbranch_execz .LBB0_5
; %bb.4:
	ds_read_b128 v[72:75], v213 offset:176
	ds_read_b128 v[76:79], v213 offset:416
	;; [unrolled: 1-line block ×11, first 2 shown]
.LBB0_5:
	s_or_b64 exec, exec, s[0:1]
	s_waitcnt lgkmcnt(0)
	v_add_f64 v[116:117], v[120:121], v[128:129]
	v_add_f64 v[118:119], v[122:123], v[130:131]
	;; [unrolled: 1-line block ×15, first 2 shown]
	s_mov_b32 s24, 0xf8bb580b
	s_mov_b32 s36, 0x8eee2c13
	;; [unrolled: 1-line block ×5, first 2 shown]
	v_add_f64 v[118:119], v[118:119], v[66:67]
	v_add_f64 v[116:117], v[116:117], v[124:125]
	;; [unrolled: 1-line block ×3, first 2 shown]
	v_add_f64 v[130:131], v[130:131], -v[134:135]
	s_mov_b32 s25, 0xbfe14ced
	s_mov_b32 s0, 0x8764f0ba
	;; [unrolled: 1-line block ×10, first 2 shown]
	v_add_f64 v[118:119], v[118:119], v[126:127]
	v_add_f64 v[116:117], v[116:117], v[132:133]
	;; [unrolled: 1-line block ×3, first 2 shown]
	v_add_f64 v[128:129], v[128:129], -v[132:133]
	v_mul_f64 v[132:133], v[130:131], s[24:25]
	s_mov_b32 s1, 0x3feaeb8c
	v_mul_f64 v[144:145], v[130:131], s[36:37]
	s_mov_b32 s11, 0x3fda9628
	;; [unrolled: 2-line block ×5, first 2 shown]
	v_add_f64 v[118:119], v[118:119], v[134:135]
	v_fma_f64 v[134:135], v[136:137], s[0:1], -v[132:133]
	v_mul_f64 v[140:141], v[128:129], s[24:25]
	v_fmac_f64_e32 v[132:133], s[0:1], v[136:137]
	v_fma_f64 v[146:147], v[136:137], s[10:11], -v[144:145]
	v_mul_f64 v[148:149], v[128:129], s[36:37]
	v_fmac_f64_e32 v[144:145], s[10:11], v[136:137]
	;; [unrolled: 3-line block ×5, first 2 shown]
	v_add_f64 v[134:135], v[120:121], v[134:135]
	v_fma_f64 v[142:143], s[0:1], v[138:139], v[140:141]
	v_add_f64 v[132:133], v[120:121], v[132:133]
	v_fma_f64 v[140:141], v[138:139], s[0:1], -v[140:141]
	v_add_f64 v[146:147], v[120:121], v[146:147]
	v_fma_f64 v[150:151], s[10:11], v[138:139], v[148:149]
	v_add_f64 v[144:145], v[120:121], v[144:145]
	v_fma_f64 v[148:149], v[138:139], s[10:11], -v[148:149]
	;; [unrolled: 4-line block ×5, first 2 shown]
	v_add_f64 v[130:131], v[70:71], v[126:127]
	v_add_f64 v[70:71], v[70:71], -v[126:127]
	v_add_f64 v[142:143], v[122:123], v[142:143]
	v_add_f64 v[140:141], v[122:123], v[140:141]
	;; [unrolled: 1-line block ×11, first 2 shown]
	v_add_f64 v[68:69], v[68:69], -v[124:125]
	v_mul_f64 v[124:125], v[70:71], s[36:37]
	v_fma_f64 v[126:127], v[128:129], s[10:11], -v[124:125]
	v_add_f64 v[126:127], v[126:127], v[134:135]
	v_mul_f64 v[134:135], v[68:69], s[36:37]
	v_fmac_f64_e32 v[124:125], s[10:11], v[128:129]
	v_fma_f64 v[136:137], s[10:11], v[130:131], v[134:135]
	v_add_f64 v[124:125], v[124:125], v[132:133]
	v_fma_f64 v[132:133], v[130:131], s[10:11], -v[134:135]
	v_mul_f64 v[134:135], v[70:71], s[22:23]
	v_add_f64 v[132:133], v[132:133], v[140:141]
	v_fma_f64 v[138:139], v[128:129], s[16:17], -v[134:135]
	v_mul_f64 v[140:141], v[68:69], s[22:23]
	v_fmac_f64_e32 v[134:135], s[16:17], v[128:129]
	s_mov_b32 s39, 0x3fd207e7
	s_mov_b32 s38, s26
	v_add_f64 v[136:137], v[136:137], v[142:143]
	v_fma_f64 v[142:143], s[16:17], v[130:131], v[140:141]
	v_add_f64 v[134:135], v[134:135], v[144:145]
	v_fma_f64 v[140:141], v[130:131], s[16:17], -v[140:141]
	v_mul_f64 v[144:145], v[70:71], s[38:39]
	v_add_f64 v[138:139], v[138:139], v[146:147]
	v_add_f64 v[140:141], v[140:141], v[148:149]
	v_fma_f64 v[146:147], v[128:129], s[18:19], -v[144:145]
	v_mul_f64 v[148:149], v[68:69], s[38:39]
	v_fmac_f64_e32 v[144:145], s[18:19], v[128:129]
	s_mov_b32 s35, 0x3fefac9e
	s_mov_b32 s34, s20
	v_add_f64 v[142:143], v[142:143], v[150:151]
	v_fma_f64 v[150:151], s[18:19], v[130:131], v[148:149]
	v_add_f64 v[144:145], v[144:145], v[152:153]
	v_fma_f64 v[148:149], v[130:131], s[18:19], -v[148:149]
	v_mul_f64 v[152:153], v[70:71], s[34:35]
	s_mov_b32 s31, 0x3fe14ced
	s_mov_b32 s30, s24
	v_add_f64 v[146:147], v[146:147], v[154:155]
	v_add_f64 v[148:149], v[148:149], v[156:157]
	v_fma_f64 v[154:155], v[128:129], s[14:15], -v[152:153]
	v_mul_f64 v[156:157], v[68:69], s[34:35]
	v_mul_f64 v[68:69], v[68:69], s[30:31]
	v_add_f64 v[154:155], v[154:155], v[164:165]
	v_fmac_f64_e32 v[152:153], s[14:15], v[128:129]
	v_mul_f64 v[70:71], v[70:71], s[30:31]
	v_fma_f64 v[164:165], s[0:1], v[130:131], v[68:69]
	v_fma_f64 v[68:69], v[130:131], s[0:1], -v[68:69]
	v_add_f64 v[152:153], v[152:153], v[162:163]
	v_fma_f64 v[162:163], v[128:129], s[0:1], -v[70:71]
	v_fmac_f64_e32 v[70:71], s[0:1], v[128:129]
	v_add_f64 v[68:69], v[68:69], v[122:123]
	v_add_f64 v[122:123], v[62:63], v[66:67]
	v_add_f64 v[62:63], v[62:63], -v[66:67]
	v_add_f64 v[70:71], v[70:71], v[120:121]
	v_add_f64 v[120:121], v[60:61], v[64:65]
	v_add_f64 v[60:61], v[60:61], -v[64:65]
	v_mul_f64 v[64:65], v[62:63], s[20:21]
	v_fma_f64 v[66:67], v[120:121], s[14:15], -v[64:65]
	v_add_f64 v[66:67], v[66:67], v[126:127]
	v_mul_f64 v[126:127], v[60:61], s[20:21]
	v_fmac_f64_e32 v[64:65], s[14:15], v[120:121]
	v_fma_f64 v[128:129], s[14:15], v[122:123], v[126:127]
	v_add_f64 v[64:65], v[64:65], v[124:125]
	v_fma_f64 v[124:125], v[122:123], s[14:15], -v[126:127]
	v_mul_f64 v[126:127], v[62:63], s[38:39]
	v_add_f64 v[150:151], v[150:151], v[158:159]
	v_fma_f64 v[158:159], s[14:15], v[130:131], v[156:157]
	v_fma_f64 v[156:157], v[130:131], s[14:15], -v[156:157]
	v_fma_f64 v[130:131], v[120:121], s[18:19], -v[126:127]
	v_fmac_f64_e32 v[126:127], s[18:19], v[120:121]
	s_mov_b32 s29, 0x3fed1bb4
	s_mov_b32 s28, s36
	v_add_f64 v[124:125], v[124:125], v[132:133]
	v_mul_f64 v[132:133], v[60:61], s[38:39]
	v_add_f64 v[126:127], v[126:127], v[134:135]
	v_mul_f64 v[134:135], v[62:63], s[28:29]
	v_add_f64 v[128:129], v[128:129], v[136:137]
	v_add_f64 v[130:131], v[130:131], v[138:139]
	v_fma_f64 v[136:137], s[18:19], v[122:123], v[132:133]
	v_fma_f64 v[132:133], v[122:123], s[18:19], -v[132:133]
	v_fma_f64 v[138:139], v[120:121], s[10:11], -v[134:135]
	v_fmac_f64_e32 v[134:135], s[10:11], v[120:121]
	v_add_f64 v[132:133], v[132:133], v[140:141]
	v_mul_f64 v[140:141], v[60:61], s[28:29]
	v_add_f64 v[134:135], v[134:135], v[144:145]
	v_mul_f64 v[144:145], v[62:63], s[24:25]
	v_add_f64 v[136:137], v[136:137], v[142:143]
	v_add_f64 v[138:139], v[138:139], v[146:147]
	v_fma_f64 v[142:143], s[10:11], v[122:123], v[140:141]
	v_fma_f64 v[140:141], v[122:123], s[10:11], -v[140:141]
	v_fma_f64 v[146:147], v[120:121], s[0:1], -v[144:145]
	v_fmac_f64_e32 v[144:145], s[0:1], v[120:121]
	v_mul_f64 v[62:63], v[62:63], s[22:23]
	v_add_f64 v[140:141], v[140:141], v[148:149]
	v_mul_f64 v[148:149], v[60:61], s[24:25]
	v_add_f64 v[144:145], v[144:145], v[152:153]
	v_fma_f64 v[152:153], v[120:121], s[16:17], -v[62:63]
	v_mul_f64 v[60:61], v[60:61], s[22:23]
	v_fmac_f64_e32 v[62:63], s[16:17], v[120:121]
	v_add_f64 v[146:147], v[146:147], v[154:155]
	v_fma_f64 v[154:155], s[16:17], v[122:123], v[60:61]
	v_add_f64 v[62:63], v[62:63], v[70:71]
	v_fma_f64 v[60:61], v[122:123], s[16:17], -v[60:61]
	v_add_f64 v[70:71], v[54:55], v[58:59]
	v_add_f64 v[54:55], v[54:55], -v[58:59]
	v_add_f64 v[60:61], v[60:61], v[68:69]
	v_add_f64 v[68:69], v[52:53], v[56:57]
	v_add_f64 v[52:53], v[52:53], -v[56:57]
	v_mul_f64 v[56:57], v[54:55], s[22:23]
	v_fma_f64 v[58:59], v[68:69], s[16:17], -v[56:57]
	v_add_f64 v[58:59], v[58:59], v[66:67]
	v_mul_f64 v[66:67], v[52:53], s[22:23]
	v_fmac_f64_e32 v[56:57], s[16:17], v[68:69]
	v_fma_f64 v[120:121], s[16:17], v[70:71], v[66:67]
	v_add_f64 v[56:57], v[56:57], v[64:65]
	v_fma_f64 v[64:65], v[70:71], s[16:17], -v[66:67]
	v_mul_f64 v[66:67], v[54:55], s[34:35]
	v_add_f64 v[142:143], v[142:143], v[150:151]
	v_fma_f64 v[150:151], s[0:1], v[122:123], v[148:149]
	v_fma_f64 v[148:149], v[122:123], s[0:1], -v[148:149]
	v_fma_f64 v[122:123], v[68:69], s[14:15], -v[66:67]
	v_add_f64 v[64:65], v[64:65], v[124:125]
	v_add_f64 v[124:125], v[122:123], v[130:131]
	v_mul_f64 v[122:123], v[52:53], s[34:35]
	v_add_f64 v[120:121], v[120:121], v[128:129]
	v_fma_f64 v[128:129], s[14:15], v[70:71], v[122:123]
	v_fmac_f64_e32 v[66:67], s[14:15], v[68:69]
	v_fma_f64 v[122:123], v[70:71], s[14:15], -v[122:123]
	v_add_f64 v[156:157], v[156:157], v[166:167]
	v_add_f64 v[66:67], v[66:67], v[126:127]
	;; [unrolled: 1-line block ×3, first 2 shown]
	v_mul_f64 v[122:123], v[54:55], s[24:25]
	v_add_f64 v[148:149], v[148:149], v[156:157]
	v_add_f64 v[156:157], v[128:129], v[136:137]
	v_fma_f64 v[128:129], v[68:69], s[0:1], -v[122:123]
	v_add_f64 v[132:133], v[128:129], v[138:139]
	v_mul_f64 v[128:129], v[52:53], s[24:25]
	v_fmac_f64_e32 v[122:123], s[0:1], v[68:69]
	v_add_f64 v[158:159], v[158:159], v[168:169]
	v_add_f64 v[134:135], v[122:123], v[134:135]
	v_fma_f64 v[122:123], v[70:71], s[0:1], -v[128:129]
	v_add_f64 v[150:151], v[150:151], v[158:159]
	v_add_f64 v[158:159], v[122:123], v[140:141]
	v_mul_f64 v[122:123], v[54:55], s[26:27]
	v_fma_f64 v[130:131], s[0:1], v[70:71], v[128:129]
	v_fma_f64 v[128:129], v[68:69], s[18:19], -v[122:123]
	v_add_f64 v[146:147], v[128:129], v[146:147]
	v_mul_f64 v[128:129], v[52:53], s[26:27]
	v_fmac_f64_e32 v[122:123], s[18:19], v[68:69]
	v_add_f64 v[162:163], v[162:163], v[170:171]
	v_add_f64 v[144:145], v[122:123], v[144:145]
	v_fma_f64 v[122:123], v[70:71], s[18:19], -v[128:129]
	v_mul_f64 v[54:55], v[54:55], s[28:29]
	v_add_f64 v[152:153], v[152:153], v[162:163]
	v_add_f64 v[162:163], v[122:123], v[148:149]
	v_fma_f64 v[122:123], v[68:69], s[10:11], -v[54:55]
	v_mul_f64 v[52:53], v[52:53], s[28:29]
	v_fmac_f64_e32 v[54:55], s[10:11], v[68:69]
	v_add_f64 v[152:153], v[122:123], v[152:153]
	v_fma_f64 v[122:123], s[10:11], v[70:71], v[52:53]
	v_add_f64 v[54:55], v[54:55], v[62:63]
	v_fma_f64 v[52:53], v[70:71], s[10:11], -v[52:53]
	v_add_f64 v[62:63], v[46:47], v[50:51]
	v_add_f64 v[46:47], v[46:47], -v[50:51]
	v_add_f64 v[52:53], v[52:53], v[60:61]
	v_add_f64 v[60:61], v[44:45], v[48:49]
	v_add_f64 v[44:45], v[44:45], -v[48:49]
	v_mul_f64 v[48:49], v[46:47], s[26:27]
	v_fma_f64 v[50:51], v[60:61], s[18:19], -v[48:49]
	v_add_f64 v[142:143], v[130:131], v[142:143]
	v_fma_f64 v[130:131], s[18:19], v[70:71], v[128:129]
	v_add_f64 v[128:129], v[50:51], v[58:59]
	v_mul_f64 v[50:51], v[44:45], s[26:27]
	v_add_f64 v[164:165], v[164:165], v[172:173]
	v_fma_f64 v[58:59], s[18:19], v[62:63], v[50:51]
	v_fmac_f64_e32 v[48:49], s[18:19], v[60:61]
	v_add_f64 v[154:155], v[154:155], v[164:165]
	v_add_f64 v[150:151], v[130:131], v[150:151]
	;; [unrolled: 1-line block ×4, first 2 shown]
	v_fma_f64 v[48:49], v[62:63], s[18:19], -v[50:51]
	v_add_f64 v[154:155], v[122:123], v[154:155]
	v_add_f64 v[122:123], v[48:49], v[64:65]
	v_mul_f64 v[48:49], v[46:47], s[30:31]
	v_fma_f64 v[50:51], v[60:61], s[0:1], -v[48:49]
	v_add_f64 v[136:137], v[50:51], v[124:125]
	v_mul_f64 v[50:51], v[44:45], s[30:31]
	v_fmac_f64_e32 v[48:49], s[0:1], v[60:61]
	v_add_f64 v[124:125], v[48:49], v[66:67]
	v_fma_f64 v[48:49], v[62:63], s[0:1], -v[50:51]
	v_add_f64 v[126:127], v[48:49], v[126:127]
	v_mul_f64 v[48:49], v[46:47], s[22:23]
	v_fma_f64 v[56:57], s[0:1], v[62:63], v[50:51]
	v_fma_f64 v[50:51], v[60:61], s[16:17], -v[48:49]
	v_add_f64 v[140:141], v[50:51], v[132:133]
	v_mul_f64 v[50:51], v[44:45], s[22:23]
	v_fmac_f64_e32 v[48:49], s[16:17], v[60:61]
	v_add_f64 v[132:133], v[48:49], v[134:135]
	v_fma_f64 v[48:49], v[62:63], s[16:17], -v[50:51]
	v_add_f64 v[134:135], v[48:49], v[158:159]
	v_mul_f64 v[48:49], v[46:47], s[28:29]
	v_add_f64 v[138:139], v[56:57], v[156:157]
	v_fma_f64 v[56:57], s[16:17], v[62:63], v[50:51]
	v_fma_f64 v[50:51], v[60:61], s[10:11], -v[48:49]
	v_add_f64 v[148:149], v[50:51], v[146:147]
	v_mul_f64 v[50:51], v[44:45], s[28:29]
	v_fmac_f64_e32 v[48:49], s[10:11], v[60:61]
	v_add_f64 v[144:145], v[48:49], v[144:145]
	v_fma_f64 v[48:49], v[62:63], s[10:11], -v[50:51]
	v_mul_f64 v[46:47], v[46:47], s[20:21]
	v_add_f64 v[146:147], v[48:49], v[162:163]
	v_fma_f64 v[48:49], v[60:61], s[14:15], -v[46:47]
	v_mul_f64 v[44:45], v[44:45], s[20:21]
	v_fmac_f64_e32 v[46:47], s[14:15], v[60:61]
	v_add_f64 v[152:153], v[48:49], v[152:153]
	v_fma_f64 v[48:49], s[14:15], v[62:63], v[44:45]
	v_add_f64 v[156:157], v[46:47], v[54:55]
	v_fma_f64 v[44:45], v[62:63], s[14:15], -v[44:45]
	v_add_f64 v[46:47], v[78:79], -v[114:115]
	v_add_f64 v[158:159], v[44:45], v[52:53]
	v_add_f64 v[176:177], v[76:77], v[112:113]
	v_add_f64 v[44:45], v[76:77], -v[112:113]
	v_mul_f64 v[162:163], v[46:47], s[24:25]
	v_add_f64 v[196:197], v[82:83], -v[110:111]
	v_add_f64 v[154:155], v[48:49], v[154:155]
	v_add_f64 v[178:179], v[78:79], v[114:115]
	v_mul_f64 v[164:165], v[44:45], s[24:25]
	v_fma_f64 v[48:49], s[0:1], v[176:177], v[162:163]
	v_add_f64 v[192:193], v[80:81], v[108:109]
	v_add_f64 v[190:191], v[80:81], -v[108:109]
	v_mul_f64 v[174:175], v[196:197], s[36:37]
	v_add_f64 v[142:143], v[56:57], v[142:143]
	v_fma_f64 v[56:57], s[10:11], v[62:63], v[50:51]
	v_add_f64 v[48:49], v[72:73], v[48:49]
	v_fma_f64 v[50:51], v[178:179], s[0:1], -v[164:165]
	v_add_f64 v[194:195], v[82:83], v[110:111]
	v_mul_f64 v[180:181], v[190:191], s[36:37]
	v_fma_f64 v[182:183], s[10:11], v[192:193], v[174:175]
	v_add_f64 v[50:51], v[74:75], v[50:51]
	v_mul_f64 v[166:167], v[46:47], s[36:37]
	v_add_f64 v[48:49], v[182:183], v[48:49]
	v_fma_f64 v[182:183], v[194:195], s[10:11], -v[180:181]
	v_mul_f64 v[168:169], v[44:45], s[36:37]
	v_fma_f64 v[52:53], s[10:11], v[176:177], v[166:167]
	v_add_f64 v[50:51], v[182:183], v[50:51]
	v_mul_f64 v[182:183], v[196:197], s[22:23]
	v_add_f64 v[52:53], v[72:73], v[52:53]
	v_fma_f64 v[54:55], v[178:179], s[10:11], -v[168:169]
	v_mul_f64 v[184:185], v[190:191], s[22:23]
	v_fma_f64 v[186:187], s[16:17], v[192:193], v[182:183]
	v_add_f64 v[54:55], v[74:75], v[54:55]
	v_mul_f64 v[170:171], v[46:47], s[20:21]
	v_add_f64 v[52:53], v[186:187], v[52:53]
	v_fma_f64 v[186:187], v[194:195], s[16:17], -v[184:185]
	v_add_f64 v[150:151], v[56:57], v[150:151]
	v_mul_f64 v[172:173], v[44:45], s[20:21]
	v_fma_f64 v[56:57], s[14:15], v[176:177], v[170:171]
	v_add_f64 v[54:55], v[186:187], v[54:55]
	v_mul_f64 v[186:187], v[196:197], s[38:39]
	v_add_f64 v[56:57], v[72:73], v[56:57]
	v_fma_f64 v[58:59], v[178:179], s[14:15], -v[172:173]
	v_mul_f64 v[188:189], v[190:191], s[38:39]
	v_fma_f64 v[198:199], s[18:19], v[192:193], v[186:187]
	v_add_f64 v[58:59], v[74:75], v[58:59]
	v_mul_f64 v[60:61], v[46:47], s[22:23]
	v_add_f64 v[56:57], v[198:199], v[56:57]
	v_fma_f64 v[198:199], v[194:195], s[18:19], -v[188:189]
	v_fma_f64 v[62:63], v[176:177], s[16:17], -v[60:61]
	v_add_f64 v[58:59], v[198:199], v[58:59]
	v_mul_f64 v[198:199], v[196:197], s[34:35]
	v_add_f64 v[62:63], v[72:73], v[62:63]
	v_mul_f64 v[64:65], v[44:45], s[22:23]
	v_fmac_f64_e32 v[60:61], s[16:17], v[176:177]
	v_fma_f64 v[200:201], v[192:193], s[14:15], -v[198:199]
	v_fma_f64 v[66:67], s[16:17], v[178:179], v[64:65]
	v_add_f64 v[60:61], v[72:73], v[60:61]
	v_fma_f64 v[64:65], v[178:179], s[16:17], -v[64:65]
	v_mul_f64 v[46:47], v[46:47], s[26:27]
	v_add_f64 v[62:63], v[200:201], v[62:63]
	v_mul_f64 v[200:201], v[190:191], s[34:35]
	v_fmac_f64_e32 v[198:199], s[14:15], v[192:193]
	v_add_f64 v[64:65], v[74:75], v[64:65]
	v_fma_f64 v[68:69], v[176:177], s[18:19], -v[46:47]
	v_mul_f64 v[44:45], v[44:45], s[26:27]
	v_add_f64 v[60:61], v[198:199], v[60:61]
	v_fma_f64 v[198:199], v[194:195], s[14:15], -v[200:201]
	v_mul_f64 v[196:197], v[196:197], s[30:31]
	v_add_f64 v[68:69], v[72:73], v[68:69]
	v_fma_f64 v[70:71], s[18:19], v[178:179], v[44:45]
	v_fma_f64 v[44:45], v[178:179], s[18:19], -v[44:45]
	v_add_f64 v[64:65], v[198:199], v[64:65]
	v_fma_f64 v[198:199], v[192:193], s[0:1], -v[196:197]
	v_mul_f64 v[190:191], v[190:191], s[30:31]
	v_fmac_f64_e32 v[46:47], s[18:19], v[176:177]
	v_add_f64 v[44:45], v[74:75], v[44:45]
	v_add_f64 v[68:69], v[198:199], v[68:69]
	v_fma_f64 v[198:199], s[0:1], v[194:195], v[190:191]
	v_fma_f64 v[190:191], v[194:195], s[0:1], -v[190:191]
	v_add_f64 v[218:219], v[86:87], -v[106:107]
	v_add_f64 v[70:71], v[74:75], v[70:71]
	v_add_f64 v[46:47], v[72:73], v[46:47]
	v_fmac_f64_e32 v[196:197], s[0:1], v[192:193]
	v_add_f64 v[44:45], v[190:191], v[44:45]
	v_add_f64 v[204:205], v[84:85], v[104:105]
	v_add_f64 v[216:217], v[84:85], -v[104:105]
	v_mul_f64 v[190:191], v[218:219], s[20:21]
	v_add_f64 v[70:71], v[198:199], v[70:71]
	v_add_f64 v[46:47], v[196:197], v[46:47]
	;; [unrolled: 1-line block ×3, first 2 shown]
	v_mul_f64 v[196:197], v[216:217], s[20:21]
	v_fma_f64 v[198:199], s[14:15], v[204:205], v[190:191]
	v_add_f64 v[48:49], v[198:199], v[48:49]
	v_fma_f64 v[198:199], v[206:207], s[14:15], -v[196:197]
	v_add_f64 v[66:67], v[74:75], v[66:67]
	v_fma_f64 v[202:203], s[14:15], v[194:195], v[200:201]
	v_add_f64 v[50:51], v[198:199], v[50:51]
	v_mul_f64 v[198:199], v[218:219], s[38:39]
	v_add_f64 v[66:67], v[202:203], v[66:67]
	v_mul_f64 v[200:201], v[216:217], s[38:39]
	v_fma_f64 v[202:203], s[18:19], v[204:205], v[198:199]
	v_add_f64 v[52:53], v[202:203], v[52:53]
	v_fma_f64 v[202:203], v[206:207], s[18:19], -v[200:201]
	v_add_f64 v[54:55], v[202:203], v[54:55]
	v_mul_f64 v[202:203], v[218:219], s[28:29]
	v_mul_f64 v[214:215], v[216:217], s[28:29]
	v_fma_f64 v[220:221], s[10:11], v[204:205], v[202:203]
	v_add_f64 v[56:57], v[220:221], v[56:57]
	v_fma_f64 v[220:221], v[206:207], s[10:11], -v[214:215]
	v_add_f64 v[58:59], v[220:221], v[58:59]
	v_mul_f64 v[220:221], v[218:219], s[24:25]
	v_fma_f64 v[222:223], v[204:205], s[0:1], -v[220:221]
	v_add_f64 v[62:63], v[222:223], v[62:63]
	v_mul_f64 v[222:223], v[216:217], s[24:25]
	v_fmac_f64_e32 v[220:221], s[0:1], v[204:205]
	v_add_f64 v[60:61], v[220:221], v[60:61]
	v_fma_f64 v[220:221], v[206:207], s[0:1], -v[222:223]
	v_mul_f64 v[218:219], v[218:219], s[22:23]
	v_add_f64 v[64:65], v[220:221], v[64:65]
	v_fma_f64 v[220:221], v[204:205], s[16:17], -v[218:219]
	v_mul_f64 v[216:217], v[216:217], s[22:23]
	v_add_f64 v[68:69], v[220:221], v[68:69]
	v_fma_f64 v[220:221], s[16:17], v[206:207], v[216:217]
	v_fma_f64 v[216:217], v[206:207], s[16:17], -v[216:217]
	v_add_f64 v[234:235], v[90:91], -v[102:103]
	v_fmac_f64_e32 v[218:219], s[16:17], v[204:205]
	v_add_f64 v[44:45], v[216:217], v[44:45]
	v_add_f64 v[226:227], v[88:89], v[100:101]
	v_add_f64 v[232:233], v[88:89], -v[100:101]
	v_mul_f64 v[216:217], v[234:235], s[22:23]
	v_add_f64 v[70:71], v[220:221], v[70:71]
	v_add_f64 v[46:47], v[218:219], v[46:47]
	;; [unrolled: 1-line block ×3, first 2 shown]
	v_mul_f64 v[218:219], v[232:233], s[22:23]
	v_fma_f64 v[220:221], s[16:17], v[226:227], v[216:217]
	v_add_f64 v[48:49], v[220:221], v[48:49]
	v_fma_f64 v[220:221], v[228:229], s[16:17], -v[218:219]
	v_fma_f64 v[224:225], s[0:1], v[206:207], v[222:223]
	v_add_f64 v[50:51], v[220:221], v[50:51]
	v_mul_f64 v[220:221], v[234:235], s[34:35]
	v_add_f64 v[66:67], v[224:225], v[66:67]
	v_mul_f64 v[222:223], v[232:233], s[34:35]
	v_fma_f64 v[224:225], s[14:15], v[226:227], v[220:221]
	v_add_f64 v[52:53], v[224:225], v[52:53]
	v_fma_f64 v[224:225], v[228:229], s[14:15], -v[222:223]
	v_add_f64 v[54:55], v[224:225], v[54:55]
	v_mul_f64 v[224:225], v[234:235], s[24:25]
	v_mul_f64 v[230:231], v[232:233], s[24:25]
	v_fma_f64 v[236:237], s[0:1], v[226:227], v[224:225]
	v_add_f64 v[56:57], v[236:237], v[56:57]
	v_fma_f64 v[236:237], v[228:229], s[0:1], -v[230:231]
	v_add_f64 v[58:59], v[236:237], v[58:59]
	v_mul_f64 v[236:237], v[234:235], s[26:27]
	v_fma_f64 v[238:239], v[226:227], s[18:19], -v[236:237]
	v_add_f64 v[62:63], v[238:239], v[62:63]
	v_mul_f64 v[238:239], v[232:233], s[26:27]
	v_fmac_f64_e32 v[236:237], s[18:19], v[226:227]
	v_add_f64 v[60:61], v[236:237], v[60:61]
	v_fma_f64 v[236:237], v[228:229], s[18:19], -v[238:239]
	v_mul_f64 v[234:235], v[234:235], s[28:29]
	v_add_f64 v[64:65], v[236:237], v[64:65]
	v_fma_f64 v[236:237], v[226:227], s[10:11], -v[234:235]
	v_mul_f64 v[232:233], v[232:233], s[28:29]
	v_fmac_f64_e32 v[234:235], s[10:11], v[226:227]
	v_add_f64 v[248:249], v[94:95], -v[98:99]
	v_fma_f64 v[240:241], s[18:19], v[228:229], v[238:239]
	v_add_f64 v[68:69], v[236:237], v[68:69]
	v_fma_f64 v[236:237], s[10:11], v[228:229], v[232:233]
	v_add_f64 v[250:251], v[234:235], v[46:47]
	v_fma_f64 v[46:47], v[228:229], s[10:11], -v[232:233]
	v_add_f64 v[238:239], v[92:93], v[96:97]
	v_mul_f64 v[232:233], v[248:249], s[26:27]
	v_add_f64 v[70:71], v[236:237], v[70:71]
	v_add_f64 v[252:253], v[46:47], v[44:45]
	v_fma_f64 v[44:45], s[18:19], v[238:239], v[232:233]
	v_mul_f64 v[236:237], v[248:249], s[30:31]
	v_add_f64 v[254:255], v[92:93], -v[96:97]
	v_add_f64 v[44:45], v[44:45], v[48:49]
	v_fma_f64 v[48:49], s[0:1], v[238:239], v[236:237]
	v_mul_f64 v[244:245], v[248:249], s[22:23]
	v_add_f64 v[66:67], v[240:241], v[66:67]
	v_add_f64 v[240:241], v[94:95], v[98:99]
	;; [unrolled: 1-line block ×3, first 2 shown]
	v_mul_f64 v[246:247], v[254:255], s[22:23]
	v_fma_f64 v[52:53], s[16:17], v[238:239], v[244:245]
	v_mul_f64 v[0:1], v[248:249], s[28:29]
	v_add_f64 v[56:57], v[52:53], v[56:57]
	v_fma_f64 v[52:53], v[240:241], s[16:17], -v[246:247]
	v_fma_f64 v[2:3], v[238:239], s[10:11], -v[0:1]
	v_mul_f64 v[234:235], v[254:255], s[26:27]
	v_add_f64 v[58:59], v[52:53], v[58:59]
	v_add_f64 v[52:53], v[2:3], v[62:63]
	v_mul_f64 v[2:3], v[254:255], s[28:29]
	v_fmac_f64_e32 v[0:1], s[10:11], v[238:239]
	v_fma_f64 v[46:47], v[240:241], s[18:19], -v[234:235]
	v_mul_f64 v[242:243], v[254:255], s[30:31]
	v_add_f64 v[60:61], v[0:1], v[60:61]
	v_fma_f64 v[0:1], v[240:241], s[10:11], -v[2:3]
	v_add_f64 v[46:47], v[46:47], v[50:51]
	v_fma_f64 v[50:51], v[240:241], s[0:1], -v[242:243]
	v_add_f64 v[62:63], v[0:1], v[64:65]
	v_mul_f64 v[0:1], v[248:249], s[20:21]
	v_add_f64 v[50:51], v[50:51], v[54:55]
	v_fma_f64 v[54:55], s[10:11], v[240:241], v[2:3]
	v_fma_f64 v[2:3], v[238:239], s[14:15], -v[0:1]
	v_add_f64 v[64:65], v[2:3], v[68:69]
	v_mul_f64 v[2:3], v[254:255], s[20:21]
	v_fmac_f64_e32 v[0:1], s[14:15], v[238:239]
	v_add_f64 v[54:55], v[54:55], v[66:67]
	v_fma_f64 v[66:67], s[14:15], v[240:241], v[2:3]
	v_add_f64 v[68:69], v[0:1], v[250:251]
	v_fma_f64 v[0:1], v[240:241], s[14:15], -v[2:3]
	v_lshl_add_u64 v[160:161], v[208:209], 0, 11
	v_add_f64 v[66:67], v[66:67], v[70:71]
	v_add_f64 v[70:71], v[0:1], v[252:253]
	v_mul_lo_u16_e32 v0, 11, v208
	v_lshl_add_u32 v251, v0, 4, v6
	v_mul_u32_u24_e32 v5, 11, v160
	s_waitcnt lgkmcnt(0)
	; wave barrier
	ds_write_b128 v251, v[116:119]
	ds_write_b128 v251, v[128:131] offset:16
	ds_write_b128 v251, v[136:139] offset:32
	;; [unrolled: 1-line block ×10, first 2 shown]
	s_and_saveexec_b64 s[20:21], vcc
	s_cbranch_execz .LBB0_7
; %bb.6:
	v_mul_f64 v[116:117], v[176:177], s[14:15]
	v_mul_f64 v[118:119], v[178:179], s[14:15]
	;; [unrolled: 1-line block ×4, first 2 shown]
	v_add_f64 v[118:119], v[172:173], v[118:119]
	v_add_f64 v[116:117], v[116:117], -v[170:171]
	v_mul_f64 v[122:123], v[178:179], s[10:11]
	v_mul_f64 v[144:145], v[204:205], s[10:11]
	;; [unrolled: 1-line block ×3, first 2 shown]
	v_add_f64 v[134:135], v[188:189], v[134:135]
	v_add_f64 v[118:119], v[74:75], v[118:119]
	v_add_f64 v[132:133], v[132:133], -v[186:187]
	v_add_f64 v[116:117], v[72:73], v[116:117]
	v_mul_f64 v[130:131], v[194:195], s[16:17]
	v_mul_f64 v[156:157], v[226:227], s[0:1]
	v_add_f64 v[146:147], v[214:215], v[146:147]
	v_add_f64 v[118:119], v[134:135], v[118:119]
	v_add_f64 v[144:145], v[144:145], -v[202:203]
	v_add_f64 v[116:117], v[132:133], v[116:117]
	v_add_f64 v[122:123], v[168:169], v[122:123]
	v_mul_f64 v[120:121], v[176:177], s[10:11]
	v_mul_f64 v[136:137], v[204:205], s[14:15]
	;; [unrolled: 1-line block ×5, first 2 shown]
	v_add_f64 v[118:119], v[146:147], v[118:119]
	v_add_f64 v[146:147], v[156:157], -v[224:225]
	v_add_f64 v[116:117], v[144:145], v[116:117]
	v_add_f64 v[130:131], v[184:185], v[130:131]
	;; [unrolled: 1-line block ×3, first 2 shown]
	v_mul_f64 v[128:129], v[192:193], s[16:17]
	v_mul_f64 v[154:155], v[228:229], s[14:15]
	v_add_f64 v[134:135], v[204:205], -v[244:245]
	v_add_f64 v[116:117], v[146:147], v[116:117]
	v_add_f64 v[142:143], v[200:201], v[142:143]
	;; [unrolled: 1-line block ×3, first 2 shown]
	v_add_f64 v[120:121], v[120:121], -v[166:167]
	v_mul_f64 v[2:3], v[178:179], s[0:1]
	v_mul_f64 v[126:127], v[194:195], s[10:11]
	v_mul_f64 v[194:195], v[240:241], s[0:1]
	v_add_f64 v[116:117], v[134:135], v[116:117]
	v_add_f64 v[134:135], v[222:223], v[154:155]
	;; [unrolled: 1-line block ×3, first 2 shown]
	v_add_f64 v[128:129], v[128:129], -v[182:183]
	v_add_f64 v[120:121], v[72:73], v[120:121]
	v_mul_f64 v[152:153], v[226:227], s[14:15]
	v_add_f64 v[132:133], v[242:243], v[194:195]
	v_add_f64 v[122:123], v[134:135], v[122:123]
	v_add_f64 v[134:135], v[140:141], -v[198:199]
	v_add_f64 v[120:121], v[128:129], v[120:121]
	v_add_f64 v[2:3], v[164:165], v[2:3]
	v_mul_f64 v[0:1], v[176:177], s[0:1]
	v_mul_f64 v[124:125], v[192:193], s[10:11]
	;; [unrolled: 1-line block ×4, first 2 shown]
	v_add_f64 v[122:123], v[132:133], v[122:123]
	v_add_f64 v[132:133], v[152:153], -v[220:221]
	v_add_f64 v[120:121], v[134:135], v[120:121]
	v_add_f64 v[126:127], v[180:181], v[126:127]
	;; [unrolled: 1-line block ×3, first 2 shown]
	v_mul_f64 v[150:151], v[228:229], s[16:17]
	v_add_f64 v[130:131], v[192:193], -v[236:237]
	v_add_f64 v[120:121], v[132:133], v[120:121]
	v_add_f64 v[132:133], v[196:197], v[138:139]
	v_add_f64 v[2:3], v[126:127], v[2:3]
	v_add_f64 v[0:1], v[0:1], -v[162:163]
	v_mul_f64 v[178:179], v[240:241], s[18:19]
	v_add_f64 v[120:121], v[130:131], v[120:121]
	v_add_f64 v[130:131], v[218:219], v[150:151]
	;; [unrolled: 1-line block ×3, first 2 shown]
	v_add_f64 v[124:125], v[124:125], -v[174:175]
	v_add_f64 v[0:1], v[72:73], v[0:1]
	v_mul_f64 v[148:149], v[226:227], s[16:17]
	v_add_f64 v[128:129], v[234:235], v[178:179]
	v_add_f64 v[2:3], v[130:131], v[2:3]
	v_add_f64 v[130:131], v[136:137], -v[190:191]
	v_add_f64 v[0:1], v[124:125], v[0:1]
	v_mul_f64 v[176:177], v[238:239], s[18:19]
	v_add_f64 v[126:127], v[128:129], v[2:3]
	v_add_f64 v[128:129], v[148:149], -v[216:217]
	v_add_f64 v[0:1], v[130:131], v[0:1]
	v_add_f64 v[2:3], v[176:177], -v[232:233]
	v_add_f64 v[0:1], v[128:129], v[0:1]
	v_add_f64 v[124:125], v[2:3], v[0:1]
	;; [unrolled: 1-line block ×19, first 2 shown]
	v_mul_f64 v[158:159], v[228:229], s[0:1]
	v_add_f64 v[0:1], v[0:1], v[104:105]
	v_mul_f64 v[206:207], v[240:241], s[16:17]
	v_add_f64 v[158:159], v[230:231], v[158:159]
	v_add_f64 v[0:1], v[0:1], v[108:109]
	;; [unrolled: 1-line block ×5, first 2 shown]
	v_lshl_add_u32 v0, v5, 4, v6
	v_add_f64 v[118:119], v[206:207], v[118:119]
	ds_write_b128 v0, v[72:75]
	ds_write_b128 v0, v[124:127] offset:16
	ds_write_b128 v0, v[120:123] offset:32
	ds_write_b128 v0, v[116:119] offset:48
	ds_write_b128 v0, v[52:55] offset:64
	ds_write_b128 v0, v[64:67] offset:80
	ds_write_b128 v0, v[68:71] offset:96
	ds_write_b128 v0, v[60:63] offset:112
	ds_write_b128 v0, v[56:59] offset:128
	ds_write_b128 v0, v[48:51] offset:144
	ds_write_b128 v0, v[44:47] offset:160
.LBB0_7:
	s_or_b64 exec, exec, s[20:21]
	v_lshl_add_u64 v[132:133], v[208:209], 0, 22
	s_movk_i32 s0, 0x75
	v_mul_lo_u16_sdwa v0, v132, s0 dst_sel:DWORD dst_unused:UNUSED_PAD src0_sel:BYTE_0 src1_sel:DWORD
	v_sub_u16_sdwa v1, v132, v0 dst_sel:DWORD dst_unused:UNUSED_PAD src0_sel:DWORD src1_sel:BYTE_1
	v_lshrrev_b16_e32 v1, 1, v1
	v_and_b32_e32 v1, 0x7f, v1
	v_add_u16_sdwa v0, v1, v0 dst_sel:DWORD dst_unused:UNUSED_PAD src0_sel:DWORD src1_sel:BYTE_1
	v_lshrrev_b16_e32 v0, 3, v0
	v_lshlrev_b32_e32 v172, 6, v208
	v_mul_lo_u16_e32 v0, 11, v0
	s_waitcnt lgkmcnt(0)
	; wave barrier
	s_waitcnt lgkmcnt(0)
	global_load_dwordx4 v[84:87], v172, s[8:9]
	global_load_dwordx4 v[80:83], v172, s[8:9] offset:16
	global_load_dwordx4 v[76:79], v172, s[8:9] offset:32
	;; [unrolled: 1-line block ×3, first 2 shown]
	v_sub_u16_e32 v4, v132, v0
	v_lshlrev_b16_e32 v0, 2, v4
	v_and_b32_e32 v0, 0xfc, v0
	v_lshlrev_b32_e32 v0, 4, v0
	global_load_dwordx4 v[100:103], v0, s[8:9]
	global_load_dwordx4 v[96:99], v0, s[8:9] offset:16
	global_load_dwordx4 v[92:95], v0, s[8:9] offset:32
	;; [unrolled: 1-line block ×3, first 2 shown]
	ds_read_b128 v[112:115], v213
	ds_read_b128 v[108:111], v213 offset:176
	ds_read_b128 v[116:119], v213 offset:1056
	;; [unrolled: 1-line block ×14, first 2 shown]
	s_mov_b32 s10, 0x134454ff
	s_mov_b32 s11, 0x3fee6f0e
	;; [unrolled: 1-line block ×10, first 2 shown]
	v_mov_b32_e32 v173, 0
	v_lshlrev_b32_e32 v161, 5, v208
	v_lshl_add_u64 v[134:135], s[8:9], 0, v[172:173]
	s_waitcnt lgkmcnt(0)
	; wave barrier
	s_waitcnt lgkmcnt(0)
	v_lshl_add_u32 v209, v208, 4, v6
	v_lshlrev_b32_e32 v172, 4, v208
	s_waitcnt vmcnt(7)
	v_mul_f64 v[0:1], v[138:139], v[86:87]
	s_waitcnt vmcnt(6)
	v_mul_f64 v[170:171], v[118:119], v[82:83]
	v_fma_f64 v[0:1], v[136:137], v[84:85], -v[0:1]
	v_mul_f64 v[182:183], v[116:117], v[82:83]
	s_waitcnt vmcnt(5)
	v_mul_f64 v[184:185], v[158:159], v[78:79]
	v_fma_f64 v[170:171], v[116:117], v[80:81], -v[170:171]
	v_add_f64 v[116:117], v[112:113], v[0:1]
	s_waitcnt vmcnt(4)
	v_mul_f64 v[188:189], v[126:127], v[74:75]
	v_fma_f64 v[184:185], v[156:157], v[76:77], -v[184:185]
	v_add_f64 v[116:117], v[116:117], v[170:171]
	v_mul_f64 v[194:195], v[122:123], v[82:83]
	v_fma_f64 v[188:189], v[124:125], v[72:73], -v[188:189]
	v_add_f64 v[116:117], v[116:117], v[184:185]
	v_mul_f64 v[2:3], v[136:137], v[86:87]
	v_mul_f64 v[190:191], v[124:125], v[74:75]
	;; [unrolled: 1-line block ×3, first 2 shown]
	v_fma_f64 v[194:195], v[120:121], v[80:81], -v[194:195]
	v_add_f64 v[120:121], v[116:117], v[188:189]
	s_waitcnt vmcnt(3)
	v_mul_f64 v[116:117], v[152:153], v[102:103]
	v_mul_f64 v[186:187], v[156:157], v[78:79]
	v_fmac_f64_e32 v[2:3], v[138:139], v[84:85]
	v_fmac_f64_e32 v[182:183], v[118:119], v[80:81]
	;; [unrolled: 1-line block ×3, first 2 shown]
	v_mul_f64 v[136:137], v[150:151], v[102:103]
	s_waitcnt vmcnt(2)
	v_mul_f64 v[118:119], v[164:165], v[98:99]
	v_fma_f64 v[150:151], v[150:151], v[100:101], -v[116:117]
	v_add_f64 v[116:117], v[170:171], v[184:185]
	v_mul_f64 v[198:199], v[130:131], v[74:75]
	v_fmac_f64_e32 v[186:187], v[158:159], v[76:77]
	v_fmac_f64_e32 v[146:147], v[122:123], v[80:81]
	s_waitcnt vmcnt(1)
	v_mul_f64 v[122:123], v[176:177], v[94:95]
	s_waitcnt vmcnt(0)
	v_mul_f64 v[124:125], v[180:181], v[90:91]
	v_fmac_f64_e32 v[136:137], v[152:153], v[100:101]
	v_fma_f64 v[152:153], v[162:163], v[96:97], -v[118:119]
	v_fma_f64 v[116:117], -0.5, v[116:117], v[112:113]
	v_add_f64 v[118:119], v[2:3], -v[190:191]
	v_mul_f64 v[154:155], v[128:129], v[74:75]
	v_fma_f64 v[198:199], v[128:129], v[72:73], -v[198:199]
	v_fma_f64 v[156:157], v[174:175], v[92:93], -v[122:123]
	;; [unrolled: 1-line block ×3, first 2 shown]
	v_fma_f64 v[124:125], s[10:11], v[118:119], v[116:117]
	v_add_f64 v[122:123], v[182:183], -v[186:187]
	v_add_f64 v[126:127], v[0:1], -v[170:171]
	;; [unrolled: 1-line block ×3, first 2 shown]
	v_fmac_f64_e32 v[116:117], s[16:17], v[118:119]
	v_fmac_f64_e32 v[124:125], s[0:1], v[122:123]
	v_add_f64 v[126:127], v[126:127], v[128:129]
	v_fmac_f64_e32 v[116:117], s[18:19], v[122:123]
	v_fmac_f64_e32 v[124:125], s[14:15], v[126:127]
	;; [unrolled: 1-line block ×3, first 2 shown]
	v_add_f64 v[126:127], v[0:1], v[188:189]
	v_fmac_f64_e32 v[112:113], -0.5, v[126:127]
	v_fma_f64 v[128:129], s[16:17], v[122:123], v[112:113]
	v_fmac_f64_e32 v[112:113], s[10:11], v[122:123]
	v_fmac_f64_e32 v[128:129], s[0:1], v[118:119]
	;; [unrolled: 1-line block ×3, first 2 shown]
	v_add_f64 v[118:119], v[114:115], v[2:3]
	v_add_f64 v[118:119], v[118:119], v[182:183]
	;; [unrolled: 1-line block ×3, first 2 shown]
	v_fmac_f64_e32 v[154:155], v[130:131], v[72:73]
	v_add_f64 v[126:127], v[170:171], -v[0:1]
	v_add_f64 v[130:131], v[184:185], -v[188:189]
	v_add_f64 v[122:123], v[118:119], v[190:191]
	v_add_f64 v[118:119], v[182:183], v[186:187]
	v_mul_f64 v[138:139], v[162:163], v[98:99]
	v_add_f64 v[126:127], v[126:127], v[130:131]
	v_fma_f64 v[118:119], -0.5, v[118:119], v[114:115]
	v_add_f64 v[0:1], v[0:1], -v[188:189]
	v_fmac_f64_e32 v[138:139], v[164:165], v[96:97]
	v_fmac_f64_e32 v[128:129], s[14:15], v[126:127]
	v_fmac_f64_e32 v[112:113], s[14:15], v[126:127]
	v_fma_f64 v[126:127], s[16:17], v[0:1], v[118:119]
	v_add_f64 v[162:163], v[170:171], -v[184:185]
	v_add_f64 v[130:131], v[2:3], -v[182:183]
	;; [unrolled: 1-line block ×3, first 2 shown]
	v_fmac_f64_e32 v[118:119], s[10:11], v[0:1]
	v_fmac_f64_e32 v[126:127], s[18:19], v[162:163]
	v_add_f64 v[130:131], v[130:131], v[164:165]
	v_fmac_f64_e32 v[118:119], s[0:1], v[162:163]
	v_fmac_f64_e32 v[126:127], s[14:15], v[130:131]
	;; [unrolled: 1-line block ×3, first 2 shown]
	v_add_f64 v[130:131], v[2:3], v[190:191]
	v_mul_f64 v[192:193], v[142:143], v[86:87]
	v_fmac_f64_e32 v[114:115], -0.5, v[130:131]
	v_fma_f64 v[192:193], v[140:141], v[84:85], -v[192:193]
	v_fma_f64 v[130:131], s[10:11], v[162:163], v[114:115]
	v_fmac_f64_e32 v[114:115], s[16:17], v[162:163]
	v_mul_f64 v[196:197], v[168:169], v[78:79]
	v_fmac_f64_e32 v[130:131], s[18:19], v[0:1]
	v_fmac_f64_e32 v[114:115], s[0:1], v[0:1]
	v_add_f64 v[0:1], v[108:109], v[192:193]
	v_fma_f64 v[196:197], v[166:167], v[76:77], -v[196:197]
	v_add_f64 v[0:1], v[0:1], v[194:195]
	v_mul_f64 v[144:145], v[140:141], v[86:87]
	v_add_f64 v[0:1], v[0:1], v[196:197]
	v_mul_f64 v[148:149], v[166:167], v[78:79]
	v_fmac_f64_e32 v[144:145], v[142:143], v[84:85]
	v_add_f64 v[2:3], v[182:183], -v[2:3]
	v_add_f64 v[164:165], v[186:187], -v[190:191]
	v_add_f64 v[162:163], v[0:1], v[198:199]
	v_add_f64 v[0:1], v[194:195], v[196:197]
	v_fmac_f64_e32 v[148:149], v[168:169], v[76:77]
	v_add_f64 v[2:3], v[2:3], v[164:165]
	v_fma_f64 v[166:167], -0.5, v[0:1], v[108:109]
	v_add_f64 v[0:1], v[144:145], -v[154:155]
	v_mul_f64 v[140:141], v[174:175], v[94:95]
	v_fmac_f64_e32 v[130:131], s[14:15], v[2:3]
	v_fmac_f64_e32 v[114:115], s[14:15], v[2:3]
	v_fma_f64 v[174:175], s[10:11], v[0:1], v[166:167]
	v_add_f64 v[2:3], v[146:147], -v[148:149]
	v_add_f64 v[164:165], v[192:193], -v[194:195]
	;; [unrolled: 1-line block ×3, first 2 shown]
	v_fmac_f64_e32 v[166:167], s[16:17], v[0:1]
	v_fmac_f64_e32 v[174:175], s[0:1], v[2:3]
	v_add_f64 v[164:165], v[164:165], v[168:169]
	v_fmac_f64_e32 v[166:167], s[18:19], v[2:3]
	v_fmac_f64_e32 v[174:175], s[14:15], v[164:165]
	;; [unrolled: 1-line block ×3, first 2 shown]
	v_add_f64 v[164:165], v[192:193], v[198:199]
	v_fmac_f64_e32 v[108:109], -0.5, v[164:165]
	v_mul_f64 v[142:143], v[178:179], v[90:91]
	v_fma_f64 v[178:179], s[16:17], v[2:3], v[108:109]
	v_fmac_f64_e32 v[108:109], s[10:11], v[2:3]
	v_fmac_f64_e32 v[178:179], s[0:1], v[0:1]
	;; [unrolled: 1-line block ×3, first 2 shown]
	v_add_f64 v[0:1], v[110:111], v[144:145]
	v_add_f64 v[164:165], v[194:195], -v[192:193]
	v_add_f64 v[168:169], v[196:197], -v[198:199]
	v_add_f64 v[0:1], v[0:1], v[146:147]
	v_add_f64 v[164:165], v[164:165], v[168:169]
	;; [unrolled: 1-line block ×3, first 2 shown]
	v_fmac_f64_e32 v[178:179], s[14:15], v[164:165]
	v_fmac_f64_e32 v[108:109], s[14:15], v[164:165]
	v_add_f64 v[164:165], v[0:1], v[154:155]
	v_add_f64 v[0:1], v[146:147], v[148:149]
	v_fma_f64 v[168:169], -0.5, v[0:1], v[110:111]
	v_add_f64 v[0:1], v[192:193], -v[198:199]
	v_fmac_f64_e32 v[140:141], v[176:177], v[92:93]
	v_fmac_f64_e32 v[142:143], v[180:181], v[88:89]
	v_fma_f64 v[176:177], s[16:17], v[0:1], v[168:169]
	v_add_f64 v[2:3], v[194:195], -v[196:197]
	v_add_f64 v[170:171], v[144:145], -v[146:147]
	;; [unrolled: 1-line block ×3, first 2 shown]
	v_fmac_f64_e32 v[168:169], s[10:11], v[0:1]
	v_fmac_f64_e32 v[176:177], s[18:19], v[2:3]
	v_add_f64 v[170:171], v[170:171], v[180:181]
	v_fmac_f64_e32 v[168:169], s[0:1], v[2:3]
	v_fmac_f64_e32 v[176:177], s[14:15], v[170:171]
	;; [unrolled: 1-line block ×3, first 2 shown]
	v_add_f64 v[170:171], v[144:145], v[154:155]
	v_fmac_f64_e32 v[110:111], -0.5, v[170:171]
	v_fma_f64 v[180:181], s[10:11], v[2:3], v[110:111]
	v_fmac_f64_e32 v[110:111], s[16:17], v[2:3]
	v_fmac_f64_e32 v[180:181], s[18:19], v[0:1]
	;; [unrolled: 1-line block ×3, first 2 shown]
	v_add_f64 v[0:1], v[104:105], v[150:151]
	v_add_f64 v[144:145], v[146:147], -v[144:145]
	v_add_f64 v[146:147], v[148:149], -v[154:155]
	v_add_f64 v[0:1], v[0:1], v[152:153]
	v_add_f64 v[144:145], v[144:145], v[146:147]
	;; [unrolled: 1-line block ×3, first 2 shown]
	v_fmac_f64_e32 v[180:181], s[14:15], v[144:145]
	v_fmac_f64_e32 v[110:111], s[14:15], v[144:145]
	v_add_f64 v[144:145], v[0:1], v[158:159]
	v_add_f64 v[0:1], v[152:153], v[156:157]
	v_fma_f64 v[182:183], -0.5, v[0:1], v[104:105]
	v_add_f64 v[0:1], v[136:137], -v[142:143]
	v_fma_f64 v[148:149], s[10:11], v[0:1], v[182:183]
	v_add_f64 v[2:3], v[138:139], -v[140:141]
	v_add_f64 v[146:147], v[150:151], -v[152:153]
	;; [unrolled: 1-line block ×3, first 2 shown]
	v_fmac_f64_e32 v[182:183], s[16:17], v[0:1]
	v_fmac_f64_e32 v[148:149], s[0:1], v[2:3]
	v_add_f64 v[146:147], v[146:147], v[154:155]
	v_fmac_f64_e32 v[182:183], s[18:19], v[2:3]
	v_fmac_f64_e32 v[148:149], s[14:15], v[146:147]
	;; [unrolled: 1-line block ×3, first 2 shown]
	v_add_f64 v[146:147], v[150:151], v[158:159]
	v_fmac_f64_e32 v[104:105], -0.5, v[146:147]
	v_fma_f64 v[154:155], s[16:17], v[2:3], v[104:105]
	v_fmac_f64_e32 v[104:105], s[10:11], v[2:3]
	v_fmac_f64_e32 v[154:155], s[0:1], v[0:1]
	;; [unrolled: 1-line block ×3, first 2 shown]
	v_add_f64 v[0:1], v[106:107], v[136:137]
	v_add_f64 v[146:147], v[152:153], -v[150:151]
	v_add_f64 v[170:171], v[156:157], -v[158:159]
	v_add_f64 v[0:1], v[0:1], v[138:139]
	v_add_f64 v[146:147], v[146:147], v[170:171]
	;; [unrolled: 1-line block ×3, first 2 shown]
	v_fmac_f64_e32 v[154:155], s[14:15], v[146:147]
	v_fmac_f64_e32 v[104:105], s[14:15], v[146:147]
	v_add_f64 v[146:147], v[0:1], v[142:143]
	v_add_f64 v[0:1], v[138:139], v[140:141]
	v_fma_f64 v[184:185], -0.5, v[0:1], v[106:107]
	v_add_f64 v[0:1], v[150:151], -v[158:159]
	v_fma_f64 v[150:151], s[16:17], v[0:1], v[184:185]
	v_add_f64 v[2:3], v[152:153], -v[156:157]
	v_add_f64 v[152:153], v[136:137], -v[138:139]
	v_add_f64 v[156:157], v[142:143], -v[140:141]
	v_fmac_f64_e32 v[184:185], s[10:11], v[0:1]
	v_fmac_f64_e32 v[150:151], s[18:19], v[2:3]
	v_add_f64 v[152:153], v[152:153], v[156:157]
	v_fmac_f64_e32 v[184:185], s[0:1], v[2:3]
	v_fmac_f64_e32 v[150:151], s[14:15], v[152:153]
	;; [unrolled: 1-line block ×3, first 2 shown]
	v_add_f64 v[152:153], v[136:137], v[142:143]
	v_fmac_f64_e32 v[106:107], -0.5, v[152:153]
	v_fma_f64 v[156:157], s[10:11], v[2:3], v[106:107]
	v_fmac_f64_e32 v[106:107], s[16:17], v[2:3]
	v_fmac_f64_e32 v[156:157], s[18:19], v[0:1]
	v_add_f64 v[136:137], v[138:139], -v[136:137]
	v_add_f64 v[138:139], v[140:141], -v[142:143]
	v_fmac_f64_e32 v[106:107], s[0:1], v[0:1]
	v_and_b32_e32 v0, 0xff, v4
	v_add_f64 v[136:137], v[136:137], v[138:139]
	v_lshl_add_u32 v218, v0, 4, v6
	v_sub_co_u32_e64 v0, s[0:1], v134, v161
	v_fmac_f64_e32 v[106:107], s[14:15], v[136:137]
	s_nop 0
	v_subbrev_co_u32_e64 v1, s[0:1], 0, v135, s[0:1]
	v_fmac_f64_e32 v[156:157], s[14:15], v[136:137]
	ds_write_b128 v213, v[120:123]
	ds_write_b128 v213, v[124:127] offset:176
	ds_write_b128 v213, v[128:131] offset:352
	;; [unrolled: 1-line block ×14, first 2 shown]
	s_waitcnt lgkmcnt(0)
	; wave barrier
	s_waitcnt lgkmcnt(0)
	global_load_dwordx4 v[108:111], v[0:1], off offset:704
	global_load_dwordx4 v[104:107], v[0:1], off offset:720
	v_lshlrev_b32_e32 v0, 5, v160
	global_load_dwordx4 v[116:119], v0, s[8:9] offset:704
	global_load_dwordx4 v[112:115], v0, s[8:9] offset:720
	v_lshlrev_b32_e32 v0, 5, v132
	global_load_dwordx4 v[124:127], v0, s[8:9] offset:704
	global_load_dwordx4 v[120:123], v0, s[8:9] offset:720
	v_add_u32_e32 v0, 0x420, v161
	global_load_dwordx4 v[132:135], v0, s[8:9] offset:704
	global_load_dwordx4 v[128:131], v0, s[8:9] offset:720
	v_add_u32_e32 v0, 0x580, v161
	global_load_dwordx4 v[140:143], v0, s[8:9] offset:704
	global_load_dwordx4 v[136:139], v0, s[8:9] offset:720
	ds_read_b128 v[168:171], v213
	ds_read_b128 v[164:167], v213 offset:176
	ds_read_b128 v[152:155], v213 offset:1760
	;; [unrolled: 1-line block ×14, first 2 shown]
	s_mov_b32 s0, 0xe8584caa
	s_mov_b32 s1, 0x3febb67a
	;; [unrolled: 1-line block ×4, first 2 shown]
	s_waitcnt vmcnt(9) lgkmcnt(4)
	v_mul_f64 v[0:1], v[192:193], v[110:111]
	v_fma_f64 v[0:1], v[190:191], v[108:109], -v[0:1]
	v_mul_f64 v[2:3], v[190:191], v[110:111]
	s_waitcnt vmcnt(8)
	v_mul_f64 v[190:191], v[154:155], v[106:107]
	v_fma_f64 v[190:191], v[152:153], v[104:105], -v[190:191]
	v_mul_f64 v[152:153], v[152:153], v[106:107]
	v_fmac_f64_e32 v[152:153], v[154:155], v[104:105]
	s_waitcnt vmcnt(7)
	v_mul_f64 v[154:155], v[176:177], v[118:119]
	v_fmac_f64_e32 v[2:3], v[192:193], v[108:109]
	v_fma_f64 v[154:155], v[174:175], v[116:117], -v[154:155]
	v_mul_f64 v[192:193], v[174:175], v[118:119]
	s_waitcnt vmcnt(6)
	v_mul_f64 v[174:175], v[158:159], v[114:115]
	v_fma_f64 v[206:207], v[156:157], v[112:113], -v[174:175]
	s_waitcnt vmcnt(4)
	v_mul_f64 v[174:175], v[184:185], v[122:123]
	v_fma_f64 v[216:217], v[182:183], v[120:121], -v[174:175]
	s_waitcnt vmcnt(3) lgkmcnt(2)
	v_mul_f64 v[174:175], v[196:197], v[134:135]
	v_fma_f64 v[222:223], v[194:195], v[132:133], -v[174:175]
	s_waitcnt vmcnt(2)
	v_mul_f64 v[174:175], v[188:189], v[130:131]
	v_fma_f64 v[226:227], v[186:187], v[128:129], -v[174:175]
	s_waitcnt vmcnt(1) lgkmcnt(1)
	v_mul_f64 v[174:175], v[200:201], v[142:143]
	v_fmac_f64_e32 v[192:193], v[176:177], v[116:117]
	v_mul_f64 v[156:157], v[156:157], v[114:115]
	v_fma_f64 v[230:231], v[198:199], v[140:141], -v[174:175]
	s_waitcnt vmcnt(0) lgkmcnt(0)
	v_mul_f64 v[174:175], v[204:205], v[138:139]
	v_add_f64 v[176:177], v[0:1], v[190:191]
	v_fmac_f64_e32 v[156:157], v[158:159], v[112:113]
	v_mul_f64 v[158:159], v[180:181], v[126:127]
	v_fma_f64 v[234:235], v[202:203], v[136:137], -v[174:175]
	v_add_f64 v[174:175], v[168:169], v[0:1]
	v_fmac_f64_e32 v[168:169], -0.5, v[176:177]
	v_add_f64 v[176:177], v[2:3], -v[152:153]
	v_fma_f64 v[158:159], v[178:179], v[124:125], -v[158:159]
	v_mul_f64 v[214:215], v[178:179], v[126:127]
	v_fma_f64 v[178:179], s[0:1], v[176:177], v[168:169]
	v_fmac_f64_e32 v[168:169], s[8:9], v[176:177]
	v_add_f64 v[176:177], v[170:171], v[2:3]
	v_add_f64 v[2:3], v[2:3], v[152:153]
	v_fmac_f64_e32 v[170:171], -0.5, v[2:3]
	v_add_f64 v[0:1], v[0:1], -v[190:191]
	v_fmac_f64_e32 v[214:215], v[180:181], v[124:125]
	v_fma_f64 v[180:181], s[8:9], v[0:1], v[170:171]
	v_fmac_f64_e32 v[170:171], s[0:1], v[0:1]
	v_add_f64 v[0:1], v[164:165], v[154:155]
	v_mul_f64 v[220:221], v[182:183], v[122:123]
	v_add_f64 v[182:183], v[0:1], v[206:207]
	v_add_f64 v[0:1], v[154:155], v[206:207]
	v_fmac_f64_e32 v[164:165], -0.5, v[0:1]
	v_add_f64 v[0:1], v[192:193], -v[156:157]
	v_mul_f64 v[228:229], v[186:187], v[130:131]
	v_fma_f64 v[186:187], s[0:1], v[0:1], v[164:165]
	v_fmac_f64_e32 v[164:165], s[8:9], v[0:1]
	v_add_f64 v[0:1], v[166:167], v[192:193]
	v_fmac_f64_e32 v[220:221], v[184:185], v[120:121]
	v_add_f64 v[184:185], v[0:1], v[156:157]
	v_add_f64 v[0:1], v[192:193], v[156:157]
	v_fmac_f64_e32 v[166:167], -0.5, v[0:1]
	v_add_f64 v[0:1], v[154:155], -v[206:207]
	v_fmac_f64_e32 v[228:229], v[188:189], v[128:129]
	v_fma_f64 v[188:189], s[8:9], v[0:1], v[166:167]
	v_fmac_f64_e32 v[166:167], s[0:1], v[0:1]
	v_add_f64 v[0:1], v[160:161], v[158:159]
	v_add_f64 v[174:175], v[174:175], v[190:191]
	;; [unrolled: 1-line block ×4, first 2 shown]
	v_fmac_f64_e32 v[160:161], -0.5, v[0:1]
	v_add_f64 v[0:1], v[214:215], -v[220:221]
	v_mul_f64 v[224:225], v[194:195], v[134:135]
	v_fma_f64 v[194:195], s[0:1], v[0:1], v[160:161]
	v_fmac_f64_e32 v[160:161], s[8:9], v[0:1]
	v_add_f64 v[0:1], v[162:163], v[214:215]
	v_add_f64 v[192:193], v[0:1], v[220:221]
	;; [unrolled: 1-line block ×3, first 2 shown]
	v_fmac_f64_e32 v[162:163], -0.5, v[0:1]
	v_add_f64 v[0:1], v[158:159], -v[216:217]
	v_fmac_f64_e32 v[224:225], v[196:197], v[132:133]
	v_fma_f64 v[196:197], s[8:9], v[0:1], v[162:163]
	v_fmac_f64_e32 v[162:163], s[0:1], v[0:1]
	v_add_f64 v[0:1], v[144:145], v[222:223]
	v_mul_f64 v[232:233], v[198:199], v[142:143]
	v_add_f64 v[198:199], v[0:1], v[226:227]
	v_add_f64 v[0:1], v[222:223], v[226:227]
	v_fmac_f64_e32 v[144:145], -0.5, v[0:1]
	v_add_f64 v[0:1], v[224:225], -v[228:229]
	v_mul_f64 v[236:237], v[202:203], v[138:139]
	v_fma_f64 v[202:203], s[0:1], v[0:1], v[144:145]
	v_fmac_f64_e32 v[144:145], s[8:9], v[0:1]
	v_add_f64 v[0:1], v[146:147], v[224:225]
	v_fmac_f64_e32 v[232:233], v[200:201], v[140:141]
	v_add_f64 v[200:201], v[0:1], v[228:229]
	v_add_f64 v[0:1], v[224:225], v[228:229]
	v_fmac_f64_e32 v[146:147], -0.5, v[0:1]
	v_add_f64 v[0:1], v[222:223], -v[226:227]
	v_fmac_f64_e32 v[236:237], v[204:205], v[136:137]
	v_fma_f64 v[204:205], s[8:9], v[0:1], v[146:147]
	v_fmac_f64_e32 v[146:147], s[0:1], v[0:1]
	v_add_f64 v[0:1], v[148:149], v[230:231]
	v_add_f64 v[176:177], v[176:177], v[152:153]
	;; [unrolled: 1-line block ×4, first 2 shown]
	v_fmac_f64_e32 v[148:149], -0.5, v[0:1]
	v_add_f64 v[0:1], v[232:233], -v[236:237]
	v_fma_f64 v[156:157], s[0:1], v[0:1], v[148:149]
	v_fmac_f64_e32 v[148:149], s[8:9], v[0:1]
	v_add_f64 v[0:1], v[150:151], v[232:233]
	v_add_f64 v[154:155], v[0:1], v[236:237]
	;; [unrolled: 1-line block ×3, first 2 shown]
	v_fmac_f64_e32 v[150:151], -0.5, v[0:1]
	v_add_f64 v[0:1], v[230:231], -v[234:235]
	v_fma_f64 v[158:159], s[8:9], v[0:1], v[150:151]
	v_fmac_f64_e32 v[150:151], s[0:1], v[0:1]
	ds_write_b128 v213, v[174:177]
	ds_write_b128 v209, v[178:181] offset:880
	ds_write_b128 v209, v[168:171] offset:1760
	;; [unrolled: 1-line block ×14, first 2 shown]
	s_waitcnt lgkmcnt(0)
	; wave barrier
	s_waitcnt lgkmcnt(0)
	global_load_dwordx4 v[160:163], v[210:211], off offset:2640
	s_add_u32 s8, s12, 0xa50
	s_addc_u32 s9, s13, 0
	global_load_dwordx4 v[164:167], v172, s[8:9] offset:240
	global_load_dwordx4 v[168:171], v172, s[8:9] offset:480
	;; [unrolled: 1-line block ×10, first 2 shown]
	ds_read_b128 v[214:217], v213
	ds_read_b128 v[220:223], v213 offset:240
	s_waitcnt vmcnt(10) lgkmcnt(1)
	v_mul_f64 v[0:1], v[216:217], v[162:163]
	v_mul_f64 v[226:227], v[214:215], v[162:163]
	v_fma_f64 v[224:225], v[214:215], v[160:161], -v[0:1]
	v_fmac_f64_e32 v[226:227], v[216:217], v[160:161]
	ds_read_b128 v[214:217], v213 offset:480
	s_waitcnt vmcnt(9) lgkmcnt(1)
	v_mul_f64 v[0:1], v[222:223], v[166:167]
	v_mul_f64 v[162:163], v[220:221], v[166:167]
	v_fma_f64 v[160:161], v[220:221], v[164:165], -v[0:1]
	v_fmac_f64_e32 v[162:163], v[222:223], v[164:165]
	ds_write_b128 v213, v[160:163] offset:240
	ds_read_b128 v[160:163], v213 offset:720
	s_waitcnt vmcnt(8) lgkmcnt(2)
	v_mul_f64 v[0:1], v[216:217], v[170:171]
	v_mul_f64 v[166:167], v[214:215], v[170:171]
	v_fma_f64 v[164:165], v[214:215], v[168:169], -v[0:1]
	v_fmac_f64_e32 v[166:167], v[216:217], v[168:169]
	ds_read_b128 v[168:171], v213 offset:960
	ds_write_b128 v213, v[164:167] offset:480
	s_waitcnt vmcnt(7) lgkmcnt(2)
	v_mul_f64 v[0:1], v[162:163], v[176:177]
	v_mul_f64 v[166:167], v[160:161], v[176:177]
	v_fma_f64 v[164:165], v[160:161], v[174:175], -v[0:1]
	v_fmac_f64_e32 v[166:167], v[162:163], v[174:175]
	ds_read_b128 v[160:163], v213 offset:1200
	ds_write_b128 v213, v[164:167] offset:720
	;; [unrolled: 7-line block ×6, first 2 shown]
	s_waitcnt vmcnt(2) lgkmcnt(3)
	v_mul_f64 v[0:1], v[170:171], v[196:197]
	v_mul_f64 v[166:167], v[168:169], v[196:197]
	v_fma_f64 v[164:165], v[168:169], v[194:195], -v[0:1]
	v_fmac_f64_e32 v[166:167], v[170:171], v[194:195]
	ds_write_b128 v213, v[164:167] offset:1920
	ds_read_b128 v[164:167], v213 offset:2400
	s_waitcnt vmcnt(1) lgkmcnt(3)
	v_mul_f64 v[0:1], v[162:163], v[200:201]
	v_mul_f64 v[170:171], v[160:161], v[200:201]
	v_fma_f64 v[168:169], v[160:161], v[198:199], -v[0:1]
	v_fmac_f64_e32 v[170:171], v[162:163], v[198:199]
	s_waitcnt vmcnt(0) lgkmcnt(0)
	v_mul_f64 v[0:1], v[166:167], v[204:205]
	v_mul_f64 v[162:163], v[164:165], v[204:205]
	v_fma_f64 v[160:161], v[164:165], v[202:203], -v[0:1]
	v_fmac_f64_e32 v[162:163], v[166:167], v[202:203]
	ds_write_b128 v213, v[224:227]
	ds_write_b128 v213, v[168:171] offset:2160
	ds_write_b128 v213, v[160:163] offset:2400
	s_and_saveexec_b64 s[0:1], vcc
	s_cbranch_execz .LBB0_9
; %bb.8:
	v_lshl_add_u64 v[160:161], s[8:9], 0, v[172:173]
	global_load_dwordx4 v[166:169], v[160:161], off offset:176
	ds_read_b128 v[162:165], v209 offset:176
	s_waitcnt vmcnt(0) lgkmcnt(0)
	v_mul_f64 v[0:1], v[164:165], v[168:169]
	v_mul_f64 v[172:173], v[162:163], v[168:169]
	v_fma_f64 v[170:171], v[162:163], v[166:167], -v[0:1]
	v_fmac_f64_e32 v[172:173], v[164:165], v[166:167]
	global_load_dwordx4 v[166:169], v[160:161], off offset:416
	ds_read_b128 v[162:165], v209 offset:416
	ds_write_b128 v209, v[170:173] offset:176
	s_waitcnt vmcnt(0) lgkmcnt(1)
	v_mul_f64 v[0:1], v[164:165], v[168:169]
	v_mul_f64 v[172:173], v[162:163], v[168:169]
	v_fma_f64 v[170:171], v[162:163], v[166:167], -v[0:1]
	v_fmac_f64_e32 v[172:173], v[164:165], v[166:167]
	global_load_dwordx4 v[166:169], v[160:161], off offset:656
	ds_read_b128 v[162:165], v209 offset:656
	ds_write_b128 v209, v[170:173] offset:416
	;; [unrolled: 8-line block ×10, first 2 shown]
	s_waitcnt vmcnt(0) lgkmcnt(1)
	v_mul_f64 v[0:1], v[164:165], v[168:169]
	v_fma_f64 v[160:161], v[162:163], v[166:167], -v[0:1]
	v_mul_f64 v[162:163], v[162:163], v[168:169]
	v_fmac_f64_e32 v[162:163], v[164:165], v[166:167]
	ds_write_b128 v209, v[160:163] offset:2576
.LBB0_9:
	s_or_b64 exec, exec, s[0:1]
	s_waitcnt lgkmcnt(0)
	; wave barrier
	s_waitcnt lgkmcnt(0)
	ds_read_b128 v[188:191], v213
	ds_read_b128 v[200:203], v213 offset:240
	ds_read_b128 v[184:187], v213 offset:480
	ds_read_b128 v[176:179], v213 offset:720
	ds_read_b128 v[168:171], v213 offset:960
	ds_read_b128 v[160:163], v213 offset:1200
	ds_read_b128 v[164:167], v213 offset:1440
	ds_read_b128 v[172:175], v213 offset:1680
	ds_read_b128 v[180:183], v213 offset:1920
	ds_read_b128 v[192:195], v213 offset:2160
	ds_read_b128 v[204:207], v213 offset:2400
	s_and_saveexec_b64 s[0:1], vcc
	s_cbranch_execz .LBB0_11
; %bb.10:
	ds_read_b128 v[144:147], v209 offset:176
	ds_read_b128 v[152:155], v209 offset:416
	;; [unrolled: 1-line block ×11, first 2 shown]
.LBB0_11:
	s_or_b64 exec, exec, s[0:1]
	s_waitcnt lgkmcnt(9)
	v_add_f64 v[2:3], v[190:191], v[202:203]
	v_add_f64 v[0:1], v[188:189], v[200:201]
	s_waitcnt lgkmcnt(8)
	v_add_f64 v[2:3], v[2:3], v[186:187]
	v_add_f64 v[0:1], v[0:1], v[184:185]
	;; [unrolled: 3-line block ×8, first 2 shown]
	s_waitcnt lgkmcnt(1)
	v_add_f64 v[2:3], v[2:3], v[194:195]
	s_mov_b32 s0, 0x8764f0ba
	s_mov_b32 s10, 0xd9c712b6
	;; [unrolled: 1-line block ×5, first 2 shown]
	v_add_f64 v[0:1], v[0:1], v[192:193]
	s_waitcnt lgkmcnt(0)
	v_add_f64 v[198:199], v[2:3], v[206:207]
	v_add_f64 v[2:3], v[202:203], v[206:207]
	s_mov_b32 s8, 0xf8bb580b
	s_mov_b32 s1, 0x3feaeb8c
	;; [unrolled: 1-line block ×9, first 2 shown]
	v_add_f64 v[196:197], v[0:1], v[204:205]
	v_add_f64 v[0:1], v[200:201], v[204:205]
	v_add_f64 v[200:201], v[200:201], -v[204:205]
	v_add_f64 v[202:203], v[202:203], -v[206:207]
	s_mov_b32 s9, 0xbfe14ced
	v_mul_f64 v[214:215], v[2:3], s[0:1]
	s_mov_b32 s25, 0x3fe14ced
	s_mov_b32 s24, s8
	s_mov_b32 s13, 0xbfed1bb4
	v_mul_f64 v[226:227], v[2:3], s[10:11]
	s_mov_b32 s31, 0x3fed1bb4
	s_mov_b32 s30, s12
	;; [unrolled: 4-line block ×4, first 2 shown]
	v_mul_f64 v[2:3], v[2:3], s[22:23]
	s_mov_b32 s35, 0x3fd207e7
	s_mov_b32 s34, s26
	v_mul_f64 v[204:205], v[202:203], s[8:9]
	v_fma_f64 v[216:217], s[24:25], v[200:201], v[214:215]
	v_fmac_f64_e32 v[214:215], s[8:9], v[200:201]
	v_mul_f64 v[222:223], v[202:203], s[12:13]
	v_fma_f64 v[228:229], s[30:31], v[200:201], v[226:227]
	v_fmac_f64_e32 v[226:227], s[12:13], v[200:201]
	;; [unrolled: 3-line block ×5, first 2 shown]
	v_fma_f64 v[206:207], s[0:1], v[0:1], v[204:205]
	v_add_f64 v[216:217], v[190:191], v[216:217]
	v_fma_f64 v[204:205], v[0:1], s[0:1], -v[204:205]
	v_add_f64 v[214:215], v[190:191], v[214:215]
	v_fma_f64 v[224:225], s[10:11], v[0:1], v[222:223]
	v_add_f64 v[228:229], v[190:191], v[228:229]
	v_fma_f64 v[222:223], v[0:1], s[10:11], -v[222:223]
	v_add_f64 v[226:227], v[190:191], v[226:227]
	;; [unrolled: 4-line block ×5, first 2 shown]
	v_add_f64 v[190:191], v[186:187], v[194:195]
	v_add_f64 v[186:187], v[186:187], -v[194:195]
	v_add_f64 v[206:207], v[188:189], v[206:207]
	v_add_f64 v[204:205], v[188:189], v[204:205]
	;; [unrolled: 1-line block ×11, first 2 shown]
	v_add_f64 v[184:185], v[184:185], -v[192:193]
	v_mul_f64 v[192:193], v[186:187], s[12:13]
	v_fma_f64 v[194:195], s[10:11], v[188:189], v[192:193]
	v_fma_f64 v[192:193], v[188:189], s[10:11], -v[192:193]
	v_add_f64 v[192:193], v[192:193], v[204:205]
	v_mul_f64 v[204:205], v[186:187], s[20:21]
	v_add_f64 v[194:195], v[194:195], v[206:207]
	v_mul_f64 v[200:201], v[190:191], s[10:11]
	v_fma_f64 v[206:207], s[18:19], v[188:189], v[204:205]
	v_fma_f64 v[204:205], v[188:189], s[18:19], -v[204:205]
	v_fma_f64 v[202:203], s[30:31], v[184:185], v[200:201]
	v_fmac_f64_e32 v[200:201], s[12:13], v[184:185]
	v_add_f64 v[204:205], v[204:205], v[222:223]
	v_mul_f64 v[222:223], v[186:187], s[34:35]
	v_add_f64 v[200:201], v[200:201], v[214:215]
	v_add_f64 v[206:207], v[206:207], v[224:225]
	v_mul_f64 v[214:215], v[190:191], s[18:19]
	v_fma_f64 v[224:225], s[22:23], v[188:189], v[222:223]
	v_fma_f64 v[222:223], v[188:189], s[22:23], -v[222:223]
	v_add_f64 v[202:203], v[202:203], v[216:217]
	v_fma_f64 v[216:217], s[36:37], v[184:185], v[214:215]
	v_fmac_f64_e32 v[214:215], s[20:21], v[184:185]
	v_add_f64 v[222:223], v[222:223], v[230:231]
	v_mul_f64 v[230:231], v[186:187], s[28:29]
	v_add_f64 v[214:215], v[214:215], v[226:227]
	v_add_f64 v[224:225], v[224:225], v[232:233]
	v_mul_f64 v[226:227], v[190:191], s[22:23]
	v_fma_f64 v[232:233], s[14:15], v[188:189], v[230:231]
	v_fma_f64 v[230:231], v[188:189], s[14:15], -v[230:231]
	v_mul_f64 v[186:187], v[186:187], s[24:25]
	v_add_f64 v[216:217], v[216:217], v[228:229]
	v_fma_f64 v[228:229], s[26:27], v[184:185], v[226:227]
	v_fmac_f64_e32 v[226:227], s[34:35], v[184:185]
	v_add_f64 v[230:231], v[230:231], v[238:239]
	v_fma_f64 v[238:239], s[0:1], v[188:189], v[186:187]
	v_fma_f64 v[186:187], v[188:189], s[0:1], -v[186:187]
	v_add_f64 v[226:227], v[226:227], v[234:235]
	v_mul_f64 v[234:235], v[190:191], s[14:15]
	v_mul_f64 v[190:191], v[190:191], s[0:1]
	v_add_f64 v[0:1], v[186:187], v[0:1]
	v_add_f64 v[186:187], v[178:179], v[182:183]
	v_add_f64 v[178:179], v[178:179], -v[182:183]
	v_add_f64 v[228:229], v[228:229], v[236:237]
	v_add_f64 v[232:233], v[232:233], v[240:241]
	v_fma_f64 v[236:237], s[16:17], v[184:185], v[234:235]
	v_fmac_f64_e32 v[234:235], s[28:29], v[184:185]
	v_fma_f64 v[240:241], s[8:9], v[184:185], v[190:191]
	v_fmac_f64_e32 v[190:191], s[24:25], v[184:185]
	v_add_f64 v[184:185], v[176:177], v[180:181]
	v_add_f64 v[176:177], v[176:177], -v[180:181]
	v_mul_f64 v[180:181], v[178:179], s[16:17]
	v_fma_f64 v[182:183], s[14:15], v[184:185], v[180:181]
	v_fma_f64 v[180:181], v[184:185], s[14:15], -v[180:181]
	v_add_f64 v[180:181], v[180:181], v[192:193]
	v_mul_f64 v[192:193], v[178:179], s[34:35]
	v_add_f64 v[182:183], v[182:183], v[194:195]
	v_mul_f64 v[188:189], v[186:187], s[14:15]
	v_fma_f64 v[194:195], s[22:23], v[184:185], v[192:193]
	v_fma_f64 v[192:193], v[184:185], s[22:23], -v[192:193]
	v_add_f64 v[2:3], v[190:191], v[2:3]
	v_fma_f64 v[190:191], s[28:29], v[176:177], v[188:189]
	v_fmac_f64_e32 v[188:189], s[16:17], v[176:177]
	v_add_f64 v[192:193], v[192:193], v[204:205]
	v_mul_f64 v[204:205], v[178:179], s[30:31]
	v_add_f64 v[188:189], v[188:189], v[200:201]
	v_add_f64 v[194:195], v[194:195], v[206:207]
	v_mul_f64 v[200:201], v[186:187], s[22:23]
	v_fma_f64 v[206:207], s[10:11], v[184:185], v[204:205]
	v_fma_f64 v[204:205], v[184:185], s[10:11], -v[204:205]
	v_add_f64 v[190:191], v[190:191], v[202:203]
	v_fma_f64 v[202:203], s[26:27], v[176:177], v[200:201]
	v_fmac_f64_e32 v[200:201], s[34:35], v[176:177]
	v_add_f64 v[204:205], v[204:205], v[222:223]
	v_mul_f64 v[222:223], v[178:179], s[8:9]
	v_add_f64 v[200:201], v[200:201], v[214:215]
	v_add_f64 v[206:207], v[206:207], v[224:225]
	v_mul_f64 v[214:215], v[186:187], s[10:11]
	v_fma_f64 v[224:225], s[0:1], v[184:185], v[222:223]
	v_fma_f64 v[222:223], v[184:185], s[0:1], -v[222:223]
	v_mul_f64 v[178:179], v[178:179], s[20:21]
	v_add_f64 v[202:203], v[202:203], v[216:217]
	v_fma_f64 v[216:217], s[12:13], v[176:177], v[214:215]
	v_fmac_f64_e32 v[214:215], s[30:31], v[176:177]
	v_add_f64 v[222:223], v[222:223], v[230:231]
	v_fma_f64 v[230:231], s[18:19], v[184:185], v[178:179]
	v_fma_f64 v[178:179], v[184:185], s[18:19], -v[178:179]
	v_add_f64 v[214:215], v[214:215], v[226:227]
	v_mul_f64 v[226:227], v[186:187], s[0:1]
	v_mul_f64 v[186:187], v[186:187], s[18:19]
	v_add_f64 v[0:1], v[178:179], v[0:1]
	v_add_f64 v[178:179], v[170:171], v[174:175]
	v_add_f64 v[170:171], v[170:171], -v[174:175]
	v_add_f64 v[216:217], v[216:217], v[228:229]
	v_add_f64 v[224:225], v[224:225], v[232:233]
	v_fma_f64 v[228:229], s[24:25], v[176:177], v[226:227]
	v_fmac_f64_e32 v[226:227], s[8:9], v[176:177]
	v_fma_f64 v[232:233], s[36:37], v[176:177], v[186:187]
	v_fmac_f64_e32 v[186:187], s[20:21], v[176:177]
	v_add_f64 v[176:177], v[168:169], v[172:173]
	v_add_f64 v[168:169], v[168:169], -v[172:173]
	v_mul_f64 v[172:173], v[170:171], s[20:21]
	v_fma_f64 v[174:175], s[18:19], v[176:177], v[172:173]
	v_add_f64 v[174:175], v[174:175], v[182:183]
	v_mul_f64 v[182:183], v[178:179], s[18:19]
	v_fma_f64 v[184:185], s[36:37], v[168:169], v[182:183]
	v_fma_f64 v[172:173], v[176:177], s[18:19], -v[172:173]
	v_fmac_f64_e32 v[182:183], s[20:21], v[168:169]
	v_add_f64 v[172:173], v[172:173], v[180:181]
	v_add_f64 v[180:181], v[182:183], v[188:189]
	v_mul_f64 v[182:183], v[170:171], s[28:29]
	v_add_f64 v[2:3], v[186:187], v[2:3]
	v_fma_f64 v[186:187], s[14:15], v[176:177], v[182:183]
	v_mul_f64 v[188:189], v[178:179], s[14:15]
	v_fma_f64 v[182:183], v[176:177], s[14:15], -v[182:183]
	v_add_f64 v[184:185], v[184:185], v[190:191]
	v_fma_f64 v[190:191], s[16:17], v[168:169], v[188:189]
	v_add_f64 v[182:183], v[182:183], v[192:193]
	v_fmac_f64_e32 v[188:189], s[28:29], v[168:169]
	v_mul_f64 v[192:193], v[170:171], s[8:9]
	v_add_f64 v[186:187], v[186:187], v[194:195]
	v_add_f64 v[188:189], v[188:189], v[200:201]
	v_fma_f64 v[194:195], s[0:1], v[176:177], v[192:193]
	v_mul_f64 v[200:201], v[178:179], s[0:1]
	v_fma_f64 v[192:193], v[176:177], s[0:1], -v[192:193]
	v_add_f64 v[190:191], v[190:191], v[202:203]
	v_fma_f64 v[202:203], s[24:25], v[168:169], v[200:201]
	v_add_f64 v[192:193], v[192:193], v[204:205]
	v_fmac_f64_e32 v[200:201], s[8:9], v[168:169]
	v_mul_f64 v[204:205], v[170:171], s[26:27]
	v_add_f64 v[240:241], v[240:241], v[248:249]
	v_add_f64 v[194:195], v[194:195], v[206:207]
	;; [unrolled: 1-line block ×3, first 2 shown]
	v_fma_f64 v[206:207], s[22:23], v[176:177], v[204:205]
	v_mul_f64 v[214:215], v[178:179], s[22:23]
	v_mul_f64 v[178:179], v[178:179], s[10:11]
	v_add_f64 v[234:235], v[234:235], v[242:243]
	v_add_f64 v[238:239], v[238:239], v[246:247]
	v_add_f64 v[232:233], v[232:233], v[240:241]
	v_add_f64 v[206:207], v[206:207], v[224:225]
	v_fma_f64 v[204:205], v[176:177], s[22:23], -v[204:205]
	v_mul_f64 v[170:171], v[170:171], s[30:31]
	v_fma_f64 v[224:225], s[12:13], v[168:169], v[178:179]
	v_add_f64 v[226:227], v[226:227], v[234:235]
	v_add_f64 v[230:231], v[230:231], v[238:239]
	;; [unrolled: 1-line block ×3, first 2 shown]
	v_fma_f64 v[216:217], s[34:35], v[168:169], v[214:215]
	v_add_f64 v[204:205], v[204:205], v[222:223]
	v_fmac_f64_e32 v[214:215], s[26:27], v[168:169]
	v_fma_f64 v[222:223], s[10:11], v[176:177], v[170:171]
	v_add_f64 v[224:225], v[224:225], v[232:233]
	v_add_f64 v[232:233], v[162:163], -v[166:167]
	v_add_f64 v[236:237], v[236:237], v[244:245]
	v_add_f64 v[214:215], v[214:215], v[226:227]
	v_add_f64 v[222:223], v[222:223], v[230:231]
	v_add_f64 v[226:227], v[160:161], v[164:165]
	v_add_f64 v[230:231], v[160:161], -v[164:165]
	v_mul_f64 v[164:165], v[232:233], s[26:27]
	v_add_f64 v[228:229], v[228:229], v[236:237]
	v_fma_f64 v[160:161], s[22:23], v[226:227], v[164:165]
	v_fma_f64 v[164:165], v[226:227], s[22:23], -v[164:165]
	v_add_f64 v[216:217], v[216:217], v[228:229]
	v_add_f64 v[228:229], v[162:163], v[166:167]
	;; [unrolled: 1-line block ×3, first 2 shown]
	v_mul_f64 v[172:173], v[232:233], s[24:25]
	v_fmac_f64_e32 v[178:179], s[30:31], v[168:169]
	v_mul_f64 v[166:167], v[228:229], s[22:23]
	v_fma_f64 v[168:169], s[0:1], v[226:227], v[172:173]
	v_fma_f64 v[172:173], v[226:227], s[0:1], -v[172:173]
	v_fma_f64 v[170:171], v[176:177], s[10:11], -v[170:171]
	v_add_f64 v[160:161], v[160:161], v[174:175]
	v_fma_f64 v[162:163], s[34:35], v[230:231], v[166:167]
	v_fmac_f64_e32 v[166:167], s[26:27], v[230:231]
	v_mul_f64 v[174:175], v[228:229], s[0:1]
	v_add_f64 v[172:173], v[172:173], v[182:183]
	v_mul_f64 v[182:183], v[228:229], s[18:19]
	v_add_f64 v[0:1], v[170:171], v[0:1]
	v_add_f64 v[2:3], v[178:179], v[2:3]
	;; [unrolled: 1-line block ×3, first 2 shown]
	v_fma_f64 v[170:171], s[8:9], v[230:231], v[174:175]
	v_fmac_f64_e32 v[174:175], s[24:25], v[230:231]
	v_mul_f64 v[180:181], v[232:233], s[20:21]
	v_fma_f64 v[178:179], s[36:37], v[230:231], v[182:183]
	v_fmac_f64_e32 v[182:183], s[20:21], v[230:231]
	v_add_f64 v[170:171], v[170:171], v[190:191]
	v_add_f64 v[174:175], v[174:175], v[188:189]
	v_fma_f64 v[176:177], s[18:19], v[226:227], v[180:181]
	v_add_f64 v[178:179], v[178:179], v[202:203]
	v_fma_f64 v[180:181], v[226:227], s[18:19], -v[180:181]
	v_add_f64 v[182:183], v[182:183], v[200:201]
	v_mul_f64 v[188:189], v[232:233], s[30:31]
	v_mul_f64 v[190:191], v[228:229], s[10:11]
	;; [unrolled: 1-line block ×4, first 2 shown]
	v_add_u32_e32 v221, 0x160, v213
	v_add_u32_e32 v220, 0x210, v213
	;; [unrolled: 1-line block ×3, first 2 shown]
	v_add_f64 v[162:163], v[162:163], v[184:185]
	v_add_f64 v[168:169], v[168:169], v[186:187]
	;; [unrolled: 1-line block ×4, first 2 shown]
	v_fma_f64 v[184:185], s[10:11], v[226:227], v[188:189]
	v_fma_f64 v[186:187], s[12:13], v[230:231], v[190:191]
	v_fma_f64 v[188:189], v[226:227], s[10:11], -v[188:189]
	v_fmac_f64_e32 v[190:191], s[30:31], v[230:231]
	v_fma_f64 v[192:193], s[14:15], v[226:227], v[200:201]
	v_fma_f64 v[194:195], s[28:29], v[230:231], v[202:203]
	v_fma_f64 v[200:201], v[226:227], s[14:15], -v[200:201]
	v_fmac_f64_e32 v[202:203], s[16:17], v[230:231]
	v_add_f64 v[184:185], v[184:185], v[206:207]
	v_add_f64 v[186:187], v[186:187], v[216:217]
	;; [unrolled: 1-line block ×8, first 2 shown]
	s_waitcnt lgkmcnt(0)
	; wave barrier
	ds_write_b128 v251, v[196:199]
	ds_write_b128 v251, v[160:163] offset:16
	ds_write_b128 v251, v[168:171] offset:32
	;; [unrolled: 1-line block ×10, first 2 shown]
	s_and_saveexec_b64 s[36:37], vcc
	s_cbranch_execz .LBB0_13
; %bb.12:
	v_add_f64 v[204:205], v[152:153], -v[44:45]
	v_add_f64 v[202:203], v[156:157], -v[48:49]
	v_mul_f64 v[172:173], v[204:205], s[26:27]
	v_add_f64 v[184:185], v[154:155], v[46:47]
	v_add_f64 v[200:201], v[148:149], -v[56:57]
	v_mul_f64 v[168:169], v[202:203], s[24:25]
	v_add_f64 v[182:183], v[158:159], v[50:51]
	v_fma_f64 v[174:175], s[22:23], v[184:185], v[172:173]
	v_fma_f64 v[172:173], v[184:185], s[22:23], -v[172:173]
	v_add_f64 v[198:199], v[52:53], -v[60:61]
	v_mul_f64 v[166:167], v[200:201], s[20:21]
	v_add_f64 v[180:181], v[150:151], v[58:59]
	v_fma_f64 v[170:171], s[0:1], v[182:183], v[168:169]
	v_add_f64 v[240:241], v[154:155], -v[46:47]
	v_fma_f64 v[168:169], v[182:183], s[0:1], -v[168:169]
	v_add_f64 v[172:173], v[146:147], v[172:173]
	v_add_f64 v[196:197], v[64:65], -v[68:69]
	v_mul_f64 v[164:165], v[198:199], s[30:31]
	v_add_f64 v[178:179], v[54:55], v[62:63]
	v_fma_f64 v[162:163], s[18:19], v[180:181], v[166:167]
	v_add_f64 v[174:175], v[146:147], v[174:175]
	v_add_f64 v[238:239], v[158:159], -v[50:51]
	v_add_f64 v[194:195], v[152:153], v[44:45]
	v_mul_f64 v[230:231], v[240:241], s[26:27]
	v_fma_f64 v[166:167], v[180:181], s[18:19], -v[166:167]
	v_add_f64 v[168:169], v[168:169], v[172:173]
	v_mul_f64 v[0:1], v[196:197], s[16:17]
	v_add_f64 v[176:177], v[66:67], v[70:71]
	v_fma_f64 v[160:161], s[10:11], v[178:179], v[164:165]
	v_add_f64 v[170:171], v[170:171], v[174:175]
	v_add_f64 v[216:217], v[150:151], -v[58:59]
	v_add_f64 v[192:193], v[156:157], v[48:49]
	v_mul_f64 v[226:227], v[238:239], s[24:25]
	v_fma_f64 v[232:233], v[194:195], s[22:23], -v[230:231]
	v_fma_f64 v[164:165], v[178:179], s[10:11], -v[164:165]
	v_add_f64 v[166:167], v[166:167], v[168:169]
	v_fma_f64 v[2:3], s[14:15], v[176:177], v[0:1]
	v_add_f64 v[162:163], v[162:163], v[170:171]
	v_add_f64 v[214:215], v[54:55], -v[62:63]
	v_add_f64 v[190:191], v[148:149], v[56:57]
	v_mul_f64 v[222:223], v[216:217], s[20:21]
	v_fma_f64 v[228:229], v[192:193], s[0:1], -v[226:227]
	v_add_f64 v[232:233], v[144:145], v[232:233]
	v_fma_f64 v[0:1], v[176:177], s[14:15], -v[0:1]
	v_add_f64 v[164:165], v[164:165], v[166:167]
	v_fmac_f64_e32 v[230:231], s[22:23], v[194:195]
	v_add_f64 v[160:161], v[160:161], v[162:163]
	v_add_f64 v[206:207], v[66:67], -v[70:71]
	v_add_f64 v[188:189], v[52:53], v[60:61]
	v_mul_f64 v[170:171], v[214:215], s[30:31]
	v_fma_f64 v[224:225], v[190:191], s[18:19], -v[222:223]
	v_add_f64 v[228:229], v[228:229], v[232:233]
	v_add_f64 v[166:167], v[0:1], v[164:165]
	v_fmac_f64_e32 v[226:227], s[0:1], v[192:193]
	v_add_f64 v[0:1], v[144:145], v[230:231]
	v_add_f64 v[162:163], v[2:3], v[160:161]
	;; [unrolled: 1-line block ×3, first 2 shown]
	v_mul_f64 v[2:3], v[206:207], s[16:17]
	v_fma_f64 v[174:175], v[188:189], s[10:11], -v[170:171]
	v_add_f64 v[224:225], v[224:225], v[228:229]
	v_fmac_f64_e32 v[222:223], s[18:19], v[190:191]
	v_add_f64 v[0:1], v[226:227], v[0:1]
	v_mul_f64 v[226:227], v[204:205], s[20:21]
	v_fma_f64 v[160:161], v[186:187], s[14:15], -v[2:3]
	v_add_f64 v[174:175], v[174:175], v[224:225]
	v_add_f64 v[0:1], v[222:223], v[0:1]
	v_mul_f64 v[222:223], v[202:203], s[28:29]
	v_fma_f64 v[228:229], s[18:19], v[184:185], v[226:227]
	v_fma_f64 v[226:227], v[184:185], s[18:19], -v[226:227]
	v_add_f64 v[160:161], v[160:161], v[174:175]
	v_fmac_f64_e32 v[170:171], s[10:11], v[188:189]
	v_mul_f64 v[174:175], v[200:201], s[8:9]
	v_fma_f64 v[224:225], s[14:15], v[182:183], v[222:223]
	v_fma_f64 v[222:223], v[182:183], s[14:15], -v[222:223]
	v_add_f64 v[226:227], v[146:147], v[226:227]
	v_fmac_f64_e32 v[2:3], s[14:15], v[186:187]
	v_add_f64 v[0:1], v[170:171], v[0:1]
	v_mul_f64 v[172:173], v[198:199], s[26:27]
	v_fma_f64 v[170:171], s[0:1], v[180:181], v[174:175]
	v_add_f64 v[228:229], v[146:147], v[228:229]
	v_mul_f64 v[242:243], v[240:241], s[20:21]
	v_fma_f64 v[174:175], v[180:181], s[0:1], -v[174:175]
	v_add_f64 v[222:223], v[222:223], v[226:227]
	v_add_f64 v[164:165], v[2:3], v[0:1]
	v_mul_f64 v[0:1], v[196:197], s[30:31]
	v_fma_f64 v[168:169], s[22:23], v[178:179], v[172:173]
	v_add_f64 v[224:225], v[224:225], v[228:229]
	v_mul_f64 v[234:235], v[238:239], s[28:29]
	v_fma_f64 v[244:245], v[194:195], s[18:19], -v[242:243]
	v_fma_f64 v[172:173], v[178:179], s[22:23], -v[172:173]
	v_add_f64 v[174:175], v[174:175], v[222:223]
	v_fma_f64 v[2:3], s[10:11], v[176:177], v[0:1]
	v_add_f64 v[170:171], v[170:171], v[224:225]
	v_mul_f64 v[230:231], v[216:217], s[8:9]
	v_fma_f64 v[236:237], v[192:193], s[14:15], -v[234:235]
	v_add_f64 v[244:245], v[144:145], v[244:245]
	v_fma_f64 v[0:1], v[176:177], s[10:11], -v[0:1]
	v_add_f64 v[172:173], v[172:173], v[174:175]
	v_fmac_f64_e32 v[242:243], s[18:19], v[194:195]
	v_add_f64 v[168:169], v[168:169], v[170:171]
	v_mul_f64 v[224:225], v[214:215], s[26:27]
	v_fma_f64 v[232:233], v[190:191], s[0:1], -v[230:231]
	v_add_f64 v[236:237], v[236:237], v[244:245]
	v_add_f64 v[174:175], v[0:1], v[172:173]
	v_fmac_f64_e32 v[234:235], s[14:15], v[192:193]
	v_add_f64 v[0:1], v[144:145], v[242:243]
	v_add_f64 v[170:171], v[2:3], v[168:169]
	v_mul_f64 v[2:3], v[206:207], s[30:31]
	v_fma_f64 v[228:229], v[188:189], s[22:23], -v[224:225]
	v_add_f64 v[232:233], v[232:233], v[236:237]
	v_fmac_f64_e32 v[230:231], s[0:1], v[190:191]
	v_add_f64 v[0:1], v[234:235], v[0:1]
	v_mul_f64 v[234:235], v[204:205], s[16:17]
	v_fma_f64 v[168:169], v[186:187], s[10:11], -v[2:3]
	v_add_f64 v[228:229], v[228:229], v[232:233]
	v_add_f64 v[0:1], v[230:231], v[0:1]
	v_mul_f64 v[230:231], v[202:203], s[34:35]
	v_fma_f64 v[236:237], s[14:15], v[184:185], v[234:235]
	v_fma_f64 v[234:235], v[184:185], s[14:15], -v[234:235]
	v_add_f64 v[168:169], v[168:169], v[228:229]
	v_fmac_f64_e32 v[224:225], s[22:23], v[188:189]
	v_mul_f64 v[228:229], v[200:201], s[30:31]
	v_fma_f64 v[232:233], s[22:23], v[182:183], v[230:231]
	v_fma_f64 v[230:231], v[182:183], s[22:23], -v[230:231]
	v_add_f64 v[234:235], v[146:147], v[234:235]
	v_fmac_f64_e32 v[2:3], s[10:11], v[186:187]
	v_add_f64 v[0:1], v[224:225], v[0:1]
	v_mul_f64 v[226:227], v[198:199], s[8:9]
	v_fma_f64 v[224:225], s[10:11], v[180:181], v[228:229]
	v_add_f64 v[236:237], v[146:147], v[236:237]
	v_mul_f64 v[252:253], v[240:241], s[16:17]
	v_fma_f64 v[228:229], v[180:181], s[10:11], -v[228:229]
	v_add_f64 v[230:231], v[230:231], v[234:235]
	v_add_f64 v[172:173], v[2:3], v[0:1]
	v_mul_f64 v[0:1], v[196:197], s[20:21]
	v_fma_f64 v[222:223], s[0:1], v[178:179], v[226:227]
	v_add_f64 v[232:233], v[232:233], v[236:237]
	v_mul_f64 v[246:247], v[238:239], s[34:35]
	v_fma_f64 v[254:255], v[194:195], s[14:15], -v[252:253]
	v_fma_f64 v[226:227], v[178:179], s[0:1], -v[226:227]
	v_add_f64 v[228:229], v[228:229], v[230:231]
	v_fma_f64 v[2:3], s[18:19], v[176:177], v[0:1]
	v_add_f64 v[224:225], v[224:225], v[232:233]
	v_mul_f64 v[242:243], v[216:217], s[30:31]
	v_fma_f64 v[248:249], v[192:193], s[22:23], -v[246:247]
	v_add_f64 v[254:255], v[144:145], v[254:255]
	v_fma_f64 v[0:1], v[176:177], s[18:19], -v[0:1]
	v_add_f64 v[226:227], v[226:227], v[228:229]
	v_fmac_f64_e32 v[252:253], s[14:15], v[194:195]
	v_add_f64 v[222:223], v[222:223], v[224:225]
	v_mul_f64 v[232:233], v[214:215], s[8:9]
	v_fma_f64 v[244:245], v[190:191], s[10:11], -v[242:243]
	v_add_f64 v[248:249], v[248:249], v[254:255]
	v_add_f64 v[228:229], v[0:1], v[226:227]
	v_fmac_f64_e32 v[246:247], s[22:23], v[192:193]
	v_add_f64 v[0:1], v[144:145], v[252:253]
	v_add_f64 v[224:225], v[2:3], v[222:223]
	v_mul_f64 v[2:3], v[206:207], s[20:21]
	v_fma_f64 v[236:237], v[188:189], s[0:1], -v[232:233]
	v_add_f64 v[244:245], v[244:245], v[248:249]
	v_fmac_f64_e32 v[242:243], s[10:11], v[190:191]
	v_add_f64 v[0:1], v[246:247], v[0:1]
	v_mul_f64 v[246:247], v[204:205], s[12:13]
	v_fma_f64 v[222:223], v[186:187], s[18:19], -v[2:3]
	v_add_f64 v[236:237], v[236:237], v[244:245]
	v_add_f64 v[0:1], v[242:243], v[0:1]
	v_mul_f64 v[242:243], v[202:203], s[20:21]
	v_fma_f64 v[248:249], s[10:11], v[184:185], v[246:247]
	v_accvgpr_write_b32 a13, v11
	v_add_f64 v[222:223], v[222:223], v[236:237]
	v_fmac_f64_e32 v[232:233], s[0:1], v[188:189]
	v_mul_f64 v[236:237], v[200:201], s[34:35]
	v_fma_f64 v[244:245], s[18:19], v[182:183], v[242:243]
	v_add_f64 v[248:249], v[146:147], v[248:249]
	v_accvgpr_write_b32 a12, v10
	v_accvgpr_write_b32 a11, v9
	v_accvgpr_write_b32 a10, v8
	v_mov_b32_e32 v8, v5
	v_mul_f64 v[4:5], v[240:241], s[12:13]
	v_fmac_f64_e32 v[2:3], s[18:19], v[186:187]
	v_add_f64 v[0:1], v[232:233], v[0:1]
	v_mul_f64 v[234:235], v[198:199], s[28:29]
	v_fma_f64 v[232:233], s[22:23], v[180:181], v[236:237]
	v_add_f64 v[244:245], v[244:245], v[248:249]
	v_mul_f64 v[250:251], v[238:239], s[20:21]
	v_mov_b32_e32 v9, v219
	v_mov_b32_e32 v219, v6
	v_fma_f64 v[6:7], v[194:195], s[10:11], -v[4:5]
	v_add_f64 v[226:227], v[2:3], v[0:1]
	v_mul_f64 v[0:1], v[196:197], s[24:25]
	v_fma_f64 v[230:231], s[14:15], v[178:179], v[234:235]
	v_add_f64 v[232:233], v[232:233], v[244:245]
	v_mul_f64 v[252:253], v[216:217], s[34:35]
	v_accvgpr_write_b32 a1, v220
	v_accvgpr_write_b32 a14, v221
	v_fma_f64 v[220:221], v[192:193], s[18:19], -v[250:251]
	v_add_f64 v[6:7], v[144:145], v[6:7]
	v_fma_f64 v[2:3], s[0:1], v[176:177], v[0:1]
	v_add_f64 v[230:231], v[230:231], v[232:233]
	v_mul_f64 v[244:245], v[214:215], s[28:29]
	v_fma_f64 v[254:255], v[190:191], s[22:23], -v[252:253]
	v_add_f64 v[6:7], v[220:221], v[6:7]
	v_add_f64 v[232:233], v[2:3], v[230:231]
	v_mul_f64 v[2:3], v[206:207], s[24:25]
	v_fma_f64 v[248:249], v[188:189], s[14:15], -v[244:245]
	v_add_f64 v[6:7], v[254:255], v[6:7]
	v_fma_f64 v[230:231], v[186:187], s[0:1], -v[2:3]
	v_add_f64 v[6:7], v[248:249], v[6:7]
	v_fma_f64 v[220:221], v[180:181], s[22:23], -v[236:237]
	v_fma_f64 v[236:237], v[184:185], s[10:11], -v[246:247]
	v_add_f64 v[230:231], v[230:231], v[6:7]
	v_fma_f64 v[6:7], v[178:179], s[14:15], -v[234:235]
	v_fma_f64 v[234:235], v[182:183], s[18:19], -v[242:243]
	v_add_f64 v[236:237], v[146:147], v[236:237]
	v_add_f64 v[234:235], v[234:235], v[236:237]
	;; [unrolled: 1-line block ×3, first 2 shown]
	v_fma_f64 v[0:1], v[176:177], s[0:1], -v[0:1]
	v_add_f64 v[6:7], v[6:7], v[220:221]
	v_fmac_f64_e32 v[4:5], s[10:11], v[194:195]
	v_add_f64 v[236:237], v[0:1], v[6:7]
	v_fmac_f64_e32 v[250:251], s[18:19], v[192:193]
	;; [unrolled: 2-line block ×3, first 2 shown]
	v_add_f64 v[0:1], v[250:251], v[0:1]
	v_mul_f64 v[204:205], v[204:205], s[8:9]
	v_fmac_f64_e32 v[244:245], s[14:15], v[188:189]
	v_add_f64 v[0:1], v[252:253], v[0:1]
	v_mul_f64 v[202:203], v[202:203], s[12:13]
	v_fma_f64 v[220:221], s[0:1], v[184:185], v[204:205]
	v_fmac_f64_e32 v[2:3], s[0:1], v[186:187]
	v_add_f64 v[0:1], v[244:245], v[0:1]
	v_mul_f64 v[4:5], v[198:199], s[20:21]
	v_mul_f64 v[200:201], v[200:201], s[16:17]
	v_fma_f64 v[198:199], s[10:11], v[182:183], v[202:203]
	v_add_f64 v[220:221], v[146:147], v[220:221]
	v_add_f64 v[234:235], v[2:3], v[0:1]
	v_mul_f64 v[0:1], v[196:197], s[26:27]
	v_fma_f64 v[196:197], s[14:15], v[180:181], v[200:201]
	v_add_f64 v[198:199], v[198:199], v[220:221]
	v_fma_f64 v[6:7], s[18:19], v[178:179], v[4:5]
	v_add_f64 v[196:197], v[196:197], v[198:199]
	v_mul_f64 v[240:241], v[240:241], s[8:9]
	v_fma_f64 v[2:3], s[22:23], v[176:177], v[0:1]
	v_add_f64 v[6:7], v[6:7], v[196:197]
	v_mul_f64 v[220:221], v[238:239], s[12:13]
	v_fma_f64 v[242:243], v[194:195], s[0:1], -v[240:241]
	v_add_f64 v[198:199], v[2:3], v[6:7]
	v_mul_f64 v[2:3], v[206:207], s[26:27]
	v_mul_f64 v[206:207], v[214:215], s[20:21]
	;; [unrolled: 1-line block ×3, first 2 shown]
	v_fma_f64 v[238:239], v[192:193], s[10:11], -v[220:221]
	v_add_f64 v[242:243], v[144:145], v[242:243]
	v_fma_f64 v[216:217], v[190:191], s[14:15], -v[214:215]
	v_add_f64 v[238:239], v[238:239], v[242:243]
	;; [unrolled: 2-line block ×3, first 2 shown]
	v_fma_f64 v[4:5], v[178:179], s[18:19], -v[4:5]
	v_fma_f64 v[178:179], v[184:185], s[0:1], -v[204:205]
	v_fma_f64 v[6:7], v[186:187], s[22:23], -v[2:3]
	v_add_f64 v[196:197], v[196:197], v[216:217]
	v_fma_f64 v[0:1], v[176:177], s[22:23], -v[0:1]
	v_fma_f64 v[176:177], v[182:183], s[10:11], -v[202:203]
	v_add_f64 v[178:179], v[146:147], v[178:179]
	v_add_f64 v[196:197], v[6:7], v[196:197]
	v_fma_f64 v[6:7], v[180:181], s[14:15], -v[200:201]
	v_add_f64 v[176:177], v[176:177], v[178:179]
	v_add_f64 v[6:7], v[6:7], v[176:177]
	;; [unrolled: 1-line block ×3, first 2 shown]
	v_fmac_f64_e32 v[240:241], s[0:1], v[194:195]
	v_add_f64 v[178:179], v[0:1], v[4:5]
	v_fmac_f64_e32 v[220:221], s[10:11], v[192:193]
	v_add_f64 v[0:1], v[144:145], v[240:241]
	;; [unrolled: 2-line block ×5, first 2 shown]
	v_add_f64 v[176:177], v[2:3], v[0:1]
	v_add_f64 v[0:1], v[146:147], v[154:155]
	;; [unrolled: 1-line block ×21, first 2 shown]
	v_lshl_add_u32 v0, v8, 4, v219
	v_mov_b32_e32 v219, v9
	v_accvgpr_read_b32 v8, a10
	v_accvgpr_read_b32 v221, a14
	;; [unrolled: 1-line block ×6, first 2 shown]
	ds_write_b128 v0, v[44:47]
	ds_write_b128 v0, v[176:179] offset:16
	ds_write_b128 v0, v[234:237] offset:32
	;; [unrolled: 1-line block ×10, first 2 shown]
.LBB0_13:
	s_or_b64 exec, exec, s[36:37]
	s_waitcnt lgkmcnt(0)
	; wave barrier
	s_waitcnt lgkmcnt(0)
	ds_read_b128 v[44:47], v213
	ds_read_b128 v[48:51], v213 offset:176
	ds_read_b128 v[56:59], v213 offset:1056
	;; [unrolled: 1-line block ×14, first 2 shown]
	s_waitcnt lgkmcnt(12)
	v_mul_f64 v[4:5], v[82:83], v[58:59]
	s_waitcnt lgkmcnt(8)
	v_mul_f64 v[2:3], v[86:87], v[150:151]
	v_fmac_f64_e32 v[4:5], v[80:81], v[56:57]
	v_mul_f64 v[6:7], v[82:83], v[56:57]
	s_waitcnt lgkmcnt(4)
	v_mul_f64 v[56:57], v[78:79], v[162:163]
	v_mul_f64 v[0:1], v[86:87], v[152:153]
	v_fma_f64 v[2:3], v[84:85], v[152:153], -v[2:3]
	v_fma_f64 v[152:153], v[76:77], v[164:165], -v[56:57]
	v_mul_f64 v[56:57], v[74:75], v[64:65]
	v_fmac_f64_e32 v[0:1], v[84:85], v[150:151]
	v_mul_f64 v[150:151], v[78:79], v[164:165]
	v_fma_f64 v[164:165], v[72:73], v[66:67], -v[56:57]
	v_mul_f64 v[182:183], v[86:87], v[156:157]
	v_mul_f64 v[56:57], v[86:87], v[154:155]
	v_fmac_f64_e32 v[182:183], v[84:85], v[154:155]
	v_fma_f64 v[154:155], v[84:85], v[156:157], -v[56:57]
	v_mul_f64 v[56:57], v[82:83], v[60:61]
	v_fma_f64 v[184:185], v[80:81], v[62:63], -v[56:57]
	s_waitcnt lgkmcnt(2)
	v_mul_f64 v[186:187], v[78:79], v[172:173]
	v_mul_f64 v[56:57], v[78:79], v[170:171]
	v_fmac_f64_e32 v[186:187], v[76:77], v[170:171]
	v_fma_f64 v[170:171], v[76:77], v[172:173], -v[56:57]
	v_mul_f64 v[56:57], v[74:75], v[68:69]
	v_fmac_f64_e32 v[150:151], v[76:77], v[162:163]
	v_mul_f64 v[162:163], v[74:75], v[66:67]
	v_mul_f64 v[172:173], v[74:75], v[70:71]
	v_fma_f64 v[188:189], v[72:73], v[70:71], -v[56:57]
	v_mul_f64 v[56:57], v[102:103], v[158:159]
	v_fmac_f64_e32 v[162:163], v[72:73], v[64:65]
	v_fmac_f64_e32 v[172:173], v[72:73], v[68:69]
	v_fma_f64 v[72:73], v[100:101], v[160:161], -v[56:57]
	v_mul_f64 v[56:57], v[98:99], v[166:167]
	v_fma_f64 v[74:75], v[96:97], v[168:169], -v[56:57]
	s_waitcnt lgkmcnt(1)
	v_mul_f64 v[56:57], v[94:95], v[174:175]
	v_fma_f64 v[76:77], v[92:93], v[176:177], -v[56:57]
	s_waitcnt lgkmcnt(0)
	v_mul_f64 v[56:57], v[90:91], v[178:179]
	v_fma_f64 v[78:79], v[88:89], v[180:181], -v[56:57]
	v_add_f64 v[56:57], v[44:45], v[0:1]
	v_add_f64 v[56:57], v[56:57], v[4:5]
	v_mul_f64 v[156:157], v[82:83], v[62:63]
	v_add_f64 v[56:57], v[56:57], v[150:151]
	v_mov_b32_e32 v144, s2
	v_mov_b32_e32 v145, s3
	v_mad_u64_u32 v[146:147], s[0:1], s6, v212, 0
	v_fmac_f64_e32 v[156:157], v[80:81], v[60:61]
	v_add_f64 v[60:61], v[56:57], v[162:163]
	v_add_f64 v[56:57], v[4:5], v[150:151]
	s_mov_b32 s2, 0x134454ff
	v_fma_f64 v[6:7], v[80:81], v[58:59], -v[6:7]
	v_fma_f64 v[56:57], -0.5, v[56:57], v[44:45]
	v_add_f64 v[58:59], v[2:3], -v[164:165]
	s_mov_b32 s3, 0xbfee6f0e
	s_mov_b32 s0, 0x4755a5e
	;; [unrolled: 1-line block ×4, first 2 shown]
	v_fma_f64 v[64:65], s[2:3], v[58:59], v[56:57]
	v_add_f64 v[62:63], v[6:7], -v[152:153]
	s_mov_b32 s1, 0xbfe2cf23
	v_add_f64 v[66:67], v[0:1], -v[4:5]
	v_add_f64 v[68:69], v[162:163], -v[150:151]
	s_mov_b32 s8, 0x372fe950
	v_fmac_f64_e32 v[56:57], s[10:11], v[58:59]
	s_mov_b32 s13, 0x3fe2cf23
	s_mov_b32 s12, s0
	v_fmac_f64_e32 v[64:65], s[0:1], v[62:63]
	v_add_f64 v[66:67], v[66:67], v[68:69]
	s_mov_b32 s9, 0x3fd3c6ef
	v_fmac_f64_e32 v[56:57], s[12:13], v[62:63]
	v_fmac_f64_e32 v[64:65], s[8:9], v[66:67]
	;; [unrolled: 1-line block ×3, first 2 shown]
	v_add_f64 v[66:67], v[0:1], v[162:163]
	v_fmac_f64_e32 v[44:45], -0.5, v[66:67]
	v_fma_f64 v[68:69], s[10:11], v[62:63], v[44:45]
	v_fmac_f64_e32 v[44:45], s[2:3], v[62:63]
	v_fmac_f64_e32 v[68:69], s[0:1], v[58:59]
	;; [unrolled: 1-line block ×3, first 2 shown]
	v_add_f64 v[58:59], v[46:47], v[2:3]
	v_add_f64 v[58:59], v[58:59], v[6:7]
	;; [unrolled: 1-line block ×3, first 2 shown]
	v_add_f64 v[66:67], v[4:5], -v[0:1]
	v_add_f64 v[70:71], v[150:151], -v[162:163]
	v_add_f64 v[62:63], v[58:59], v[164:165]
	v_add_f64 v[58:59], v[6:7], v[152:153]
	v_mul_f64 v[86:87], v[90:91], v[180:181]
	v_add_f64 v[66:67], v[66:67], v[70:71]
	v_fma_f64 v[58:59], -0.5, v[58:59], v[46:47]
	v_add_f64 v[0:1], v[0:1], -v[162:163]
	v_fmac_f64_e32 v[86:87], v[88:89], v[178:179]
	v_fmac_f64_e32 v[68:69], s[8:9], v[66:67]
	;; [unrolled: 1-line block ×3, first 2 shown]
	v_fma_f64 v[66:67], s[10:11], v[0:1], v[58:59]
	v_add_f64 v[4:5], v[4:5], -v[150:151]
	v_add_f64 v[70:71], v[2:3], -v[6:7]
	v_add_f64 v[88:89], v[164:165], -v[152:153]
	v_fmac_f64_e32 v[58:59], s[2:3], v[0:1]
	v_fmac_f64_e32 v[66:67], s[12:13], v[4:5]
	v_add_f64 v[70:71], v[70:71], v[88:89]
	v_fmac_f64_e32 v[58:59], s[0:1], v[4:5]
	v_fmac_f64_e32 v[66:67], s[8:9], v[70:71]
	;; [unrolled: 1-line block ×3, first 2 shown]
	v_add_f64 v[70:71], v[2:3], v[164:165]
	v_fmac_f64_e32 v[46:47], -0.5, v[70:71]
	v_fma_f64 v[70:71], s[2:3], v[4:5], v[46:47]
	v_fmac_f64_e32 v[46:47], s[10:11], v[4:5]
	v_fmac_f64_e32 v[70:71], s[12:13], v[0:1]
	;; [unrolled: 1-line block ×3, first 2 shown]
	v_add_f64 v[0:1], v[48:49], v[182:183]
	v_add_f64 v[0:1], v[0:1], v[156:157]
	;; [unrolled: 1-line block ×3, first 2 shown]
	v_mul_f64 v[84:85], v[94:95], v[176:177]
	v_add_f64 v[2:3], v[6:7], -v[2:3]
	v_add_f64 v[6:7], v[152:153], -v[164:165]
	v_add_f64 v[88:89], v[0:1], v[172:173]
	v_add_f64 v[0:1], v[156:157], v[186:187]
	v_mul_f64 v[82:83], v[98:99], v[168:169]
	v_fmac_f64_e32 v[84:85], v[92:93], v[174:175]
	v_add_f64 v[2:3], v[2:3], v[6:7]
	v_fma_f64 v[92:93], -0.5, v[0:1], v[48:49]
	v_add_f64 v[0:1], v[154:155], -v[188:189]
	v_fmac_f64_e32 v[82:83], v[96:97], v[166:167]
	v_fmac_f64_e32 v[70:71], s[8:9], v[2:3]
	;; [unrolled: 1-line block ×3, first 2 shown]
	v_fma_f64 v[96:97], s[2:3], v[0:1], v[92:93]
	v_add_f64 v[2:3], v[184:185], -v[170:171]
	v_add_f64 v[4:5], v[182:183], -v[156:157]
	;; [unrolled: 1-line block ×3, first 2 shown]
	v_fmac_f64_e32 v[92:93], s[10:11], v[0:1]
	v_fmac_f64_e32 v[96:97], s[0:1], v[2:3]
	v_add_f64 v[4:5], v[4:5], v[6:7]
	v_fmac_f64_e32 v[92:93], s[12:13], v[2:3]
	v_fmac_f64_e32 v[96:97], s[8:9], v[4:5]
	;; [unrolled: 1-line block ×3, first 2 shown]
	v_add_f64 v[4:5], v[182:183], v[172:173]
	v_mul_f64 v[80:81], v[102:103], v[160:161]
	v_fmac_f64_e32 v[48:49], -0.5, v[4:5]
	v_fmac_f64_e32 v[80:81], v[100:101], v[158:159]
	v_fma_f64 v[100:101], s[10:11], v[2:3], v[48:49]
	v_fmac_f64_e32 v[48:49], s[2:3], v[2:3]
	v_fmac_f64_e32 v[100:101], s[0:1], v[0:1]
	v_fmac_f64_e32 v[48:49], s[12:13], v[0:1]
	v_add_f64 v[0:1], v[50:51], v[154:155]
	v_add_f64 v[0:1], v[0:1], v[184:185]
	v_add_f64 v[0:1], v[0:1], v[170:171]
	v_add_f64 v[4:5], v[156:157], -v[182:183]
	v_add_f64 v[6:7], v[186:187], -v[172:173]
	v_add_f64 v[90:91], v[0:1], v[188:189]
	v_add_f64 v[0:1], v[184:185], v[170:171]
	v_add_f64 v[4:5], v[4:5], v[6:7]
	v_fma_f64 v[94:95], -0.5, v[0:1], v[50:51]
	v_add_f64 v[0:1], v[182:183], -v[172:173]
	v_fmac_f64_e32 v[100:101], s[8:9], v[4:5]
	v_fmac_f64_e32 v[48:49], s[8:9], v[4:5]
	v_fma_f64 v[98:99], s[10:11], v[0:1], v[94:95]
	v_add_f64 v[2:3], v[156:157], -v[186:187]
	v_add_f64 v[4:5], v[154:155], -v[184:185]
	v_add_f64 v[6:7], v[188:189], -v[170:171]
	v_fmac_f64_e32 v[94:95], s[2:3], v[0:1]
	v_fmac_f64_e32 v[98:99], s[12:13], v[2:3]
	v_add_f64 v[4:5], v[4:5], v[6:7]
	v_fmac_f64_e32 v[94:95], s[0:1], v[2:3]
	v_fmac_f64_e32 v[98:99], s[8:9], v[4:5]
	v_fmac_f64_e32 v[94:95], s[8:9], v[4:5]
	v_add_f64 v[4:5], v[154:155], v[188:189]
	v_fmac_f64_e32 v[50:51], -0.5, v[4:5]
	v_fma_f64 v[102:103], s[2:3], v[2:3], v[50:51]
	v_fmac_f64_e32 v[50:51], s[10:11], v[2:3]
	v_fmac_f64_e32 v[102:103], s[12:13], v[0:1]
	v_fmac_f64_e32 v[50:51], s[0:1], v[0:1]
	v_add_f64 v[0:1], v[52:53], v[80:81]
	v_add_f64 v[0:1], v[0:1], v[82:83]
	v_add_f64 v[0:1], v[0:1], v[84:85]
	v_add_f64 v[4:5], v[184:185], -v[154:155]
	v_add_f64 v[6:7], v[170:171], -v[188:189]
	v_add_f64 v[150:151], v[0:1], v[86:87]
	v_add_f64 v[0:1], v[82:83], v[84:85]
	v_add_f64 v[4:5], v[4:5], v[6:7]
	v_fma_f64 v[154:155], -0.5, v[0:1], v[52:53]
	v_add_f64 v[0:1], v[72:73], -v[78:79]
	v_fmac_f64_e32 v[102:103], s[8:9], v[4:5]
	v_fmac_f64_e32 v[50:51], s[8:9], v[4:5]
	v_fma_f64 v[158:159], s[2:3], v[0:1], v[154:155]
	v_add_f64 v[2:3], v[74:75], -v[76:77]
	v_add_f64 v[4:5], v[80:81], -v[82:83]
	v_add_f64 v[6:7], v[86:87], -v[84:85]
	v_fmac_f64_e32 v[154:155], s[10:11], v[0:1]
	v_fmac_f64_e32 v[158:159], s[0:1], v[2:3]
	v_add_f64 v[4:5], v[4:5], v[6:7]
	v_fmac_f64_e32 v[154:155], s[12:13], v[2:3]
	v_fmac_f64_e32 v[158:159], s[8:9], v[4:5]
	v_fmac_f64_e32 v[154:155], s[8:9], v[4:5]
	v_add_f64 v[4:5], v[80:81], v[86:87]
	v_fmac_f64_e32 v[52:53], -0.5, v[4:5]
	;; [unrolled: 28-line block ×3, first 2 shown]
	v_fma_f64 v[164:165], s[2:3], v[2:3], v[54:55]
	v_add_f64 v[4:5], v[74:75], -v[72:73]
	v_add_f64 v[6:7], v[76:77], -v[78:79]
	v_fmac_f64_e32 v[54:55], s[10:11], v[2:3]
	v_add_f64 v[4:5], v[4:5], v[6:7]
	v_fmac_f64_e32 v[54:55], s[0:1], v[0:1]
	v_fmac_f64_e32 v[164:165], s[12:13], v[0:1]
	;; [unrolled: 1-line block ×4, first 2 shown]
	s_waitcnt lgkmcnt(0)
	; wave barrier
	ds_write_b128 v213, v[60:63]
	ds_write_b128 v213, v[64:67] offset:176
	ds_write_b128 v213, v[68:71] offset:352
	;; [unrolled: 1-line block ×14, first 2 shown]
	s_waitcnt lgkmcnt(0)
	; wave barrier
	s_waitcnt lgkmcnt(0)
	ds_read_b128 v[44:47], v213
	ds_read_b128 v[48:51], v213 offset:176
	ds_read_b128 v[64:67], v213 offset:1760
	;; [unrolled: 1-line block ×14, first 2 shown]
	s_waitcnt lgkmcnt(12)
	v_mul_f64 v[4:5], v[106:107], v[66:67]
	s_waitcnt lgkmcnt(4)
	v_mul_f64 v[2:3], v[110:111], v[88:89]
	v_fmac_f64_e32 v[4:5], v[104:105], v[64:65]
	v_mul_f64 v[6:7], v[106:107], v[64:65]
	v_mul_f64 v[64:65], v[118:119], v[72:73]
	;; [unrolled: 1-line block ×3, first 2 shown]
	v_fma_f64 v[2:3], v[108:109], v[90:91], -v[2:3]
	v_fma_f64 v[90:91], v[116:117], v[74:75], -v[64:65]
	v_mul_f64 v[64:65], v[114:115], v[68:69]
	v_fma_f64 v[106:107], v[112:113], v[70:71], -v[64:65]
	v_mul_f64 v[64:65], v[126:127], v[76:77]
	v_fma_f64 v[110:111], v[124:125], v[78:79], -v[64:65]
	v_mul_f64 v[64:65], v[122:123], v[80:81]
	v_fmac_f64_e32 v[0:1], v[108:109], v[88:89]
	v_fma_f64 v[6:7], v[104:105], v[66:67], -v[6:7]
	v_mul_f64 v[88:89], v[118:119], v[74:75]
	v_mul_f64 v[104:105], v[114:115], v[70:71]
	v_fma_f64 v[114:115], v[120:121], v[82:83], -v[64:65]
	s_waitcnt lgkmcnt(2)
	v_mul_f64 v[64:65], v[134:135], v[92:93]
	v_fmac_f64_e32 v[88:89], v[116:117], v[72:73]
	v_fmac_f64_e32 v[104:105], v[112:113], v[68:69]
	v_mul_f64 v[112:113], v[122:123], v[82:83]
	v_mul_f64 v[116:117], v[134:135], v[94:95]
	v_fma_f64 v[94:95], v[132:133], v[94:95], -v[64:65]
	v_mul_f64 v[64:65], v[130:131], v[84:85]
	v_mul_f64 v[108:109], v[126:127], v[78:79]
	v_fmac_f64_e32 v[112:113], v[120:121], v[80:81]
	v_fma_f64 v[120:121], v[128:129], v[86:87], -v[64:65]
	s_waitcnt lgkmcnt(1)
	v_mul_f64 v[64:65], v[142:143], v[96:97]
	v_fmac_f64_e32 v[108:109], v[124:125], v[76:77]
	v_fma_f64 v[124:125], v[140:141], v[98:99], -v[64:65]
	s_waitcnt lgkmcnt(0)
	v_mul_f64 v[64:65], v[138:139], v[100:101]
	v_add_f64 v[66:67], v[0:1], v[4:5]
	s_mov_b32 s0, 0xe8584caa
	v_mul_f64 v[126:127], v[138:139], v[102:103]
	v_fma_f64 v[102:103], v[136:137], v[102:103], -v[64:65]
	v_add_f64 v[64:65], v[44:45], v[0:1]
	v_fmac_f64_e32 v[44:45], -0.5, v[66:67]
	v_add_f64 v[66:67], v[2:3], -v[6:7]
	s_mov_b32 s1, 0xbfebb67a
	s_mov_b32 s3, 0x3febb67a
	;; [unrolled: 1-line block ×3, first 2 shown]
	v_fma_f64 v[68:69], s[0:1], v[66:67], v[44:45]
	v_fmac_f64_e32 v[44:45], s[2:3], v[66:67]
	v_add_f64 v[66:67], v[46:47], v[2:3]
	v_add_f64 v[2:3], v[2:3], v[6:7]
	v_fmac_f64_e32 v[46:47], -0.5, v[2:3]
	v_add_f64 v[0:1], v[0:1], -v[4:5]
	v_fma_f64 v[70:71], s[2:3], v[0:1], v[46:47]
	v_fmac_f64_e32 v[46:47], s[0:1], v[0:1]
	v_add_f64 v[0:1], v[48:49], v[88:89]
	v_add_f64 v[72:73], v[0:1], v[104:105]
	v_add_f64 v[0:1], v[88:89], v[104:105]
	v_fmac_f64_e32 v[48:49], -0.5, v[0:1]
	v_add_f64 v[0:1], v[90:91], -v[106:107]
	v_fma_f64 v[76:77], s[0:1], v[0:1], v[48:49]
	v_fmac_f64_e32 v[48:49], s[2:3], v[0:1]
	v_add_f64 v[0:1], v[50:51], v[90:91]
	v_add_f64 v[74:75], v[0:1], v[106:107]
	v_add_f64 v[0:1], v[90:91], v[106:107]
	v_fmac_f64_e32 v[50:51], -0.5, v[0:1]
	v_add_f64 v[0:1], v[88:89], -v[104:105]
	v_fma_f64 v[78:79], s[2:3], v[0:1], v[50:51]
	v_fmac_f64_e32 v[50:51], s[0:1], v[0:1]
	v_add_f64 v[0:1], v[52:53], v[108:109]
	v_add_f64 v[80:81], v[0:1], v[112:113]
	v_add_f64 v[0:1], v[108:109], v[112:113]
	v_mul_f64 v[118:119], v[130:131], v[86:87]
	v_fmac_f64_e32 v[52:53], -0.5, v[0:1]
	v_add_f64 v[0:1], v[110:111], -v[114:115]
	v_fmac_f64_e32 v[118:119], v[128:129], v[84:85]
	v_fma_f64 v[84:85], s[0:1], v[0:1], v[52:53]
	v_fmac_f64_e32 v[52:53], s[2:3], v[0:1]
	v_add_f64 v[0:1], v[54:55], v[110:111]
	v_add_f64 v[82:83], v[0:1], v[114:115]
	;; [unrolled: 1-line block ×3, first 2 shown]
	v_fmac_f64_e32 v[116:117], v[132:133], v[92:93]
	v_fmac_f64_e32 v[54:55], -0.5, v[0:1]
	v_add_f64 v[0:1], v[108:109], -v[112:113]
	v_fma_f64 v[86:87], s[2:3], v[0:1], v[54:55]
	v_fmac_f64_e32 v[54:55], s[0:1], v[0:1]
	v_add_f64 v[0:1], v[56:57], v[116:117]
	v_add_f64 v[88:89], v[0:1], v[118:119]
	;; [unrolled: 1-line block ×3, first 2 shown]
	v_fmac_f64_e32 v[56:57], -0.5, v[0:1]
	v_add_f64 v[0:1], v[94:95], -v[120:121]
	v_fma_f64 v[92:93], s[0:1], v[0:1], v[56:57]
	v_fmac_f64_e32 v[56:57], s[2:3], v[0:1]
	v_add_f64 v[0:1], v[58:59], v[94:95]
	v_mul_f64 v[122:123], v[142:143], v[98:99]
	v_add_f64 v[90:91], v[0:1], v[120:121]
	v_add_f64 v[0:1], v[94:95], v[120:121]
	v_fmac_f64_e32 v[122:123], v[140:141], v[96:97]
	v_fmac_f64_e32 v[58:59], -0.5, v[0:1]
	v_add_f64 v[0:1], v[116:117], -v[118:119]
	v_fmac_f64_e32 v[126:127], v[136:137], v[100:101]
	v_fma_f64 v[94:95], s[2:3], v[0:1], v[58:59]
	v_fmac_f64_e32 v[58:59], s[0:1], v[0:1]
	v_add_f64 v[0:1], v[60:61], v[122:123]
	v_add_f64 v[96:97], v[0:1], v[126:127]
	;; [unrolled: 1-line block ×3, first 2 shown]
	v_fmac_f64_e32 v[60:61], -0.5, v[0:1]
	v_add_f64 v[0:1], v[124:125], -v[102:103]
	v_fma_f64 v[100:101], s[0:1], v[0:1], v[60:61]
	v_fmac_f64_e32 v[60:61], s[2:3], v[0:1]
	v_add_f64 v[0:1], v[62:63], v[124:125]
	v_add_f64 v[98:99], v[0:1], v[102:103]
	;; [unrolled: 1-line block ×5, first 2 shown]
	v_fmac_f64_e32 v[62:63], -0.5, v[0:1]
	v_add_f64 v[0:1], v[122:123], -v[126:127]
	v_fma_f64 v[102:103], s[2:3], v[0:1], v[62:63]
	v_fmac_f64_e32 v[62:63], s[0:1], v[0:1]
	ds_write_b128 v213, v[64:67]
	ds_write_b128 v209, v[68:71] offset:880
	ds_write_b128 v209, v[44:47] offset:1760
	;; [unrolled: 1-line block ×14, first 2 shown]
	s_waitcnt lgkmcnt(0)
	; wave barrier
	s_waitcnt lgkmcnt(0)
	ds_read_b128 v[44:47], v213
	ds_read_b128 v[48:51], v213 offset:240
	v_mov_b32_e32 v148, v147
	v_accvgpr_read_b32 v2, a2
	v_mad_u64_u32 v[0:1], s[0:1], s7, v212, v[148:149]
	v_accvgpr_read_b32 v4, a4
	v_accvgpr_read_b32 v5, a5
	v_mov_b32_e32 v147, v0
	v_accvgpr_read_b32 v3, a3
	s_waitcnt lgkmcnt(1)
	v_mul_f64 v[0:1], v[4:5], v[46:47]
	s_mov_b32 s0, 0x8d3018d3
	v_fmac_f64_e32 v[0:1], v[2:3], v[44:45]
	s_mov_b32 s1, 0x3f78d301
	v_mul_f64 v[52:53], v[0:1], s[0:1]
	v_mul_f64 v[0:1], v[4:5], v[44:45]
	v_fma_f64 v[0:1], v[2:3], v[46:47], -v[0:1]
	v_mad_u64_u32 v[2:3], s[2:3], s4, v208, 0
	v_mul_f64 v[54:55], v[0:1], s[0:1]
	v_mov_b32_e32 v0, v3
	s_waitcnt lgkmcnt(0)
	v_mul_f64 v[4:5], v[42:43], v[50:51]
	v_mad_u64_u32 v[0:1], s[2:3], s5, v208, v[0:1]
	v_fmac_f64_e32 v[4:5], v[40:41], v[48:49]
	v_mul_f64 v[44:45], v[4:5], s[0:1]
	v_mul_f64 v[4:5], v[42:43], v[48:49]
	s_mul_i32 s2, s5, 15
	s_mul_hi_u32 s3, s4, 15
	v_mov_b32_e32 v3, v0
	v_lshl_add_u64 v[0:1], v[146:147], 4, v[144:145]
	v_fma_f64 v[4:5], v[40:41], v[50:51], -v[4:5]
	s_add_i32 s3, s3, s2
	s_mul_i32 s2, s4, 15
	ds_read_b128 v[40:43], v213 offset:480
	v_lshl_add_u64 v[2:3], v[2:3], 4, v[0:1]
	s_lshl_b64 s[2:3], s[2:3], 4
	v_mul_f64 v[46:47], v[4:5], s[0:1]
	v_lshl_add_u64 v[6:7], v[2:3], 0, s[2:3]
	global_store_dwordx4 v[2:3], v[52:55], off
	global_store_dwordx4 v[6:7], v[44:47], off
	ds_read_b128 v[44:47], v213 offset:720
	v_accvgpr_read_b32 v51, a9
	v_accvgpr_read_b32 v50, a8
	;; [unrolled: 1-line block ×4, first 2 shown]
	s_waitcnt lgkmcnt(1)
	v_mul_f64 v[2:3], v[50:51], v[42:43]
	v_mul_f64 v[4:5], v[50:51], v[40:41]
	v_fmac_f64_e32 v[2:3], v[48:49], v[40:41]
	v_fma_f64 v[4:5], v[48:49], v[42:43], -v[4:5]
	v_mul_f64 v[2:3], v[2:3], s[0:1]
	v_mul_f64 v[4:5], v[4:5], s[0:1]
	v_lshl_add_u64 v[6:7], v[6:7], 0, s[2:3]
	global_store_dwordx4 v[6:7], v[2:5], off
	v_lshl_add_u64 v[6:7], v[6:7], 0, s[2:3]
	s_waitcnt lgkmcnt(0)
	v_mul_f64 v[2:3], v[38:39], v[46:47]
	v_mul_f64 v[4:5], v[38:39], v[44:45]
	v_fmac_f64_e32 v[2:3], v[36:37], v[44:45]
	v_fma_f64 v[4:5], v[36:37], v[46:47], -v[4:5]
	ds_read_b128 v[36:39], v213 offset:960
	v_mul_f64 v[2:3], v[2:3], s[0:1]
	v_mul_f64 v[4:5], v[4:5], s[0:1]
	global_store_dwordx4 v[6:7], v[2:5], off
	ds_read_b128 v[2:5], v213 offset:1200
	s_waitcnt lgkmcnt(1)
	v_mul_f64 v[40:41], v[14:15], v[38:39]
	v_mul_f64 v[14:15], v[14:15], v[36:37]
	v_fmac_f64_e32 v[40:41], v[12:13], v[36:37]
	v_fma_f64 v[12:13], v[12:13], v[38:39], -v[14:15]
	v_mul_f64 v[42:43], v[12:13], s[0:1]
	s_waitcnt lgkmcnt(0)
	v_mul_f64 v[12:13], v[30:31], v[4:5]
	v_fmac_f64_e32 v[12:13], v[28:29], v[2:3]
	v_mul_f64 v[2:3], v[30:31], v[2:3]
	v_fma_f64 v[14:15], v[28:29], v[4:5], -v[2:3]
	ds_read_b128 v[2:5], v213 offset:1440
	v_lshl_add_u64 v[6:7], v[6:7], 0, s[2:3]
	v_mul_f64 v[40:41], v[40:41], s[0:1]
	v_mul_f64 v[12:13], v[12:13], s[0:1]
	;; [unrolled: 1-line block ×3, first 2 shown]
	v_lshl_add_u64 v[28:29], v[6:7], 0, s[2:3]
	global_store_dwordx4 v[6:7], v[40:43], off
	global_store_dwordx4 v[28:29], v[12:15], off
	ds_read_b128 v[12:15], v213 offset:1680
	s_waitcnt lgkmcnt(1)
	v_mul_f64 v[6:7], v[10:11], v[4:5]
	v_fmac_f64_e32 v[6:7], v[8:9], v[2:3]
	v_mul_f64 v[2:3], v[10:11], v[2:3]
	v_fma_f64 v[2:3], v[8:9], v[4:5], -v[2:3]
	v_mul_f64 v[6:7], v[6:7], s[0:1]
	v_mul_f64 v[8:9], v[2:3], s[0:1]
	v_lshl_add_u64 v[10:11], v[28:29], 0, s[2:3]
	global_store_dwordx4 v[10:11], v[6:9], off
	ds_read_b128 v[6:9], v213 offset:1920
	s_waitcnt lgkmcnt(1)
	v_mul_f64 v[2:3], v[26:27], v[14:15]
	v_mul_f64 v[4:5], v[26:27], v[12:13]
	v_fmac_f64_e32 v[2:3], v[24:25], v[12:13]
	v_fma_f64 v[4:5], v[24:25], v[14:15], -v[4:5]
	v_mul_f64 v[2:3], v[2:3], s[0:1]
	v_mul_f64 v[4:5], v[4:5], s[0:1]
	v_lshl_add_u64 v[14:15], v[10:11], 0, s[2:3]
	global_store_dwordx4 v[14:15], v[2:5], off
	ds_read_b128 v[2:5], v213 offset:2160
	s_waitcnt lgkmcnt(1)
	v_mul_f64 v[10:11], v[18:19], v[8:9]
	v_fmac_f64_e32 v[10:11], v[16:17], v[6:7]
	v_mul_f64 v[6:7], v[18:19], v[6:7]
	v_fma_f64 v[6:7], v[16:17], v[8:9], -v[6:7]
	v_mul_f64 v[10:11], v[10:11], s[0:1]
	v_mul_f64 v[12:13], v[6:7], s[0:1]
	v_lshl_add_u64 v[14:15], v[14:15], 0, s[2:3]
	global_store_dwordx4 v[14:15], v[10:13], off
	ds_read_b128 v[10:13], v213 offset:2400
	s_waitcnt lgkmcnt(1)
	v_mul_f64 v[6:7], v[22:23], v[4:5]
	v_fmac_f64_e32 v[6:7], v[20:21], v[2:3]
	v_mul_f64 v[2:3], v[22:23], v[2:3]
	v_fma_f64 v[2:3], v[20:21], v[4:5], -v[2:3]
	v_mul_f64 v[6:7], v[6:7], s[0:1]
	v_mul_f64 v[8:9], v[2:3], s[0:1]
	v_lshl_add_u64 v[2:3], v[14:15], 0, s[2:3]
	global_store_dwordx4 v[2:3], v[6:9], off
	s_waitcnt lgkmcnt(0)
	v_mul_f64 v[4:5], v[34:35], v[12:13]
	v_fmac_f64_e32 v[4:5], v[32:33], v[10:11]
	v_mul_f64 v[6:7], v[34:35], v[10:11]
	v_fma_f64 v[6:7], v[32:33], v[12:13], -v[6:7]
	v_mul_f64 v[4:5], v[4:5], s[0:1]
	v_mul_f64 v[6:7], v[6:7], s[0:1]
	v_lshl_add_u64 v[2:3], v[2:3], 0, s[2:3]
	global_store_dwordx4 v[2:3], v[4:7], off
	s_and_b64 exec, exec, vcc
	s_cbranch_execz .LBB0_15
; %bb.14:
	global_load_dwordx4 v[4:7], v[210:211], off offset:176
	ds_read_b128 v[8:11], v209 offset:176
	v_mov_b32_e32 v12, 0xfffff750
	s_mul_i32 s8, s5, 0xfffff750
	v_mad_u64_u32 v[14:15], s[6:7], s4, v12, v[2:3]
	s_sub_i32 s6, s8, s4
	s_nop 0
	v_add_u32_e32 v15, s6, v15
	v_accvgpr_read_b32 v19, a0
	v_mov_b32_e32 v20, 0x1e0
	s_mul_i32 s8, s5, 0x1e0
	s_waitcnt vmcnt(0) lgkmcnt(0)
	v_mul_f64 v[2:3], v[10:11], v[6:7]
	v_mul_f64 v[6:7], v[8:9], v[6:7]
	v_fmac_f64_e32 v[2:3], v[8:9], v[4:5]
	v_fma_f64 v[4:5], v[4:5], v[10:11], -v[6:7]
	v_mul_f64 v[2:3], v[2:3], s[0:1]
	v_mul_f64 v[4:5], v[4:5], s[0:1]
	global_store_dwordx4 v[14:15], v[2:5], off
	global_load_dwordx4 v[2:5], v[210:211], off offset:416
	ds_read_b128 v[6:9], v213 offset:416
	ds_read_b128 v[10:13], v213 offset:656
	v_lshl_add_u64 v[14:15], v[14:15], 0, s[2:3]
	s_waitcnt vmcnt(0) lgkmcnt(1)
	v_mul_f64 v[16:17], v[8:9], v[4:5]
	v_mul_f64 v[4:5], v[6:7], v[4:5]
	v_fmac_f64_e32 v[16:17], v[6:7], v[2:3]
	v_fma_f64 v[4:5], v[2:3], v[8:9], -v[4:5]
	v_mul_f64 v[2:3], v[16:17], s[0:1]
	v_mul_f64 v[4:5], v[4:5], s[0:1]
	global_store_dwordx4 v[14:15], v[2:5], off
	global_load_dwordx4 v[2:5], v[210:211], off offset:656
	v_lshl_add_u64 v[14:15], v[14:15], 0, s[2:3]
	v_mad_u64_u32 v[16:17], s[6:7], s4, v19, 0
	v_mov_b32_e32 v18, v17
	v_mad_u64_u32 v[18:19], s[6:7], s5, v19, v[18:19]
	v_mov_b32_e32 v17, v18
	v_lshl_add_u64 v[16:17], v[16:17], 4, v[0:1]
	s_waitcnt vmcnt(0) lgkmcnt(0)
	v_mul_f64 v[6:7], v[12:13], v[4:5]
	v_mul_f64 v[4:5], v[10:11], v[4:5]
	v_fmac_f64_e32 v[6:7], v[10:11], v[2:3]
	v_fma_f64 v[4:5], v[2:3], v[12:13], -v[4:5]
	v_mul_f64 v[2:3], v[6:7], s[0:1]
	v_mul_f64 v[4:5], v[4:5], s[0:1]
	global_store_dwordx4 v[14:15], v[2:5], off
	global_load_dwordx4 v[2:5], v[210:211], off offset:896
	ds_read_b128 v[6:9], v213 offset:896
	ds_read_b128 v[10:13], v213 offset:1136
	v_mad_u64_u32 v[14:15], s[6:7], s4, v20, v[14:15]
	v_add_u32_e32 v15, s8, v15
	s_waitcnt vmcnt(0) lgkmcnt(1)
	v_mul_f64 v[18:19], v[8:9], v[4:5]
	v_mul_f64 v[4:5], v[6:7], v[4:5]
	v_fmac_f64_e32 v[18:19], v[6:7], v[2:3]
	v_fma_f64 v[4:5], v[2:3], v[8:9], -v[4:5]
	v_mul_f64 v[2:3], v[18:19], s[0:1]
	v_mul_f64 v[4:5], v[4:5], s[0:1]
	global_store_dwordx4 v[16:17], v[2:5], off
	global_load_dwordx4 v[2:5], v[210:211], off offset:1136
	v_or_b32_e32 v19, 0x74, v208
	s_waitcnt vmcnt(0) lgkmcnt(0)
	v_mul_f64 v[6:7], v[12:13], v[4:5]
	v_mul_f64 v[4:5], v[10:11], v[4:5]
	v_fmac_f64_e32 v[6:7], v[10:11], v[2:3]
	v_fma_f64 v[4:5], v[2:3], v[12:13], -v[4:5]
	v_mul_f64 v[2:3], v[6:7], s[0:1]
	v_mul_f64 v[4:5], v[4:5], s[0:1]
	global_store_dwordx4 v[14:15], v[2:5], off
	global_load_dwordx4 v[2:5], v[210:211], off offset:1376
	ds_read_b128 v[6:9], v213 offset:1376
	ds_read_b128 v[10:13], v213 offset:1616
	v_lshl_add_u64 v[14:15], v[14:15], 0, s[2:3]
	s_waitcnt vmcnt(0) lgkmcnt(1)
	v_mul_f64 v[16:17], v[8:9], v[4:5]
	v_mul_f64 v[4:5], v[6:7], v[4:5]
	v_fmac_f64_e32 v[16:17], v[6:7], v[2:3]
	v_fma_f64 v[4:5], v[2:3], v[8:9], -v[4:5]
	v_mul_f64 v[2:3], v[16:17], s[0:1]
	v_mul_f64 v[4:5], v[4:5], s[0:1]
	global_store_dwordx4 v[14:15], v[2:5], off
	global_load_dwordx4 v[2:5], v[210:211], off offset:1616
	v_lshl_add_u64 v[14:15], v[14:15], 0, s[2:3]
	v_mad_u64_u32 v[16:17], s[6:7], s4, v19, 0
	v_mov_b32_e32 v18, v17
	v_mad_u64_u32 v[18:19], s[6:7], s5, v19, v[18:19]
	v_mov_b32_e32 v17, v18
	v_lshl_add_u64 v[16:17], v[16:17], 4, v[0:1]
	s_waitcnt vmcnt(0) lgkmcnt(0)
	v_mul_f64 v[6:7], v[12:13], v[4:5]
	v_mul_f64 v[4:5], v[10:11], v[4:5]
	v_fmac_f64_e32 v[6:7], v[10:11], v[2:3]
	v_fma_f64 v[4:5], v[2:3], v[12:13], -v[4:5]
	v_mul_f64 v[2:3], v[6:7], s[0:1]
	v_mul_f64 v[4:5], v[4:5], s[0:1]
	global_store_dwordx4 v[14:15], v[2:5], off
	global_load_dwordx4 v[2:5], v[210:211], off offset:1856
	ds_read_b128 v[6:9], v213 offset:1856
	ds_read_b128 v[10:13], v213 offset:2096
	v_mad_u64_u32 v[14:15], s[4:5], s4, v20, v[14:15]
	v_add_u32_e32 v15, s8, v15
	s_waitcnt vmcnt(0) lgkmcnt(1)
	v_mul_f64 v[0:1], v[8:9], v[4:5]
	v_mul_f64 v[4:5], v[6:7], v[4:5]
	v_fmac_f64_e32 v[0:1], v[6:7], v[2:3]
	v_fma_f64 v[2:3], v[2:3], v[8:9], -v[4:5]
	v_mul_f64 v[0:1], v[0:1], s[0:1]
	v_mul_f64 v[2:3], v[2:3], s[0:1]
	global_store_dwordx4 v[16:17], v[0:3], off
	global_load_dwordx4 v[0:3], v[210:211], off offset:2096
	s_waitcnt vmcnt(0) lgkmcnt(0)
	v_mul_f64 v[4:5], v[12:13], v[2:3]
	v_mul_f64 v[2:3], v[10:11], v[2:3]
	v_fmac_f64_e32 v[4:5], v[10:11], v[0:1]
	v_fma_f64 v[2:3], v[0:1], v[12:13], -v[2:3]
	v_mul_f64 v[0:1], v[4:5], s[0:1]
	v_mul_f64 v[2:3], v[2:3], s[0:1]
	global_store_dwordx4 v[14:15], v[0:3], off
	global_load_dwordx4 v[0:3], v[210:211], off offset:2336
	ds_read_b128 v[4:7], v213 offset:2336
	ds_read_b128 v[8:11], v213 offset:2576
	v_lshl_add_u64 v[12:13], v[14:15], 0, s[2:3]
	s_waitcnt vmcnt(0) lgkmcnt(1)
	v_mul_f64 v[14:15], v[6:7], v[2:3]
	v_mul_f64 v[2:3], v[4:5], v[2:3]
	v_fmac_f64_e32 v[14:15], v[4:5], v[0:1]
	v_fma_f64 v[2:3], v[0:1], v[6:7], -v[2:3]
	v_mul_f64 v[0:1], v[14:15], s[0:1]
	v_mul_f64 v[2:3], v[2:3], s[0:1]
	global_store_dwordx4 v[12:13], v[0:3], off
	global_load_dwordx4 v[0:3], v[210:211], off offset:2576
	s_waitcnt vmcnt(0) lgkmcnt(0)
	v_mul_f64 v[4:5], v[10:11], v[2:3]
	v_mul_f64 v[2:3], v[8:9], v[2:3]
	v_fmac_f64_e32 v[4:5], v[8:9], v[0:1]
	v_fma_f64 v[2:3], v[0:1], v[10:11], -v[2:3]
	v_mul_f64 v[0:1], v[4:5], s[0:1]
	v_mul_f64 v[2:3], v[2:3], s[0:1]
	v_lshl_add_u64 v[4:5], v[12:13], 0, s[2:3]
	global_store_dwordx4 v[4:5], v[0:3], off
.LBB0_15:
	s_endpgm
	.section	.rodata,"a",@progbits
	.p2align	6, 0x0
	.amdhsa_kernel bluestein_single_back_len165_dim1_dp_op_CI_CI
		.amdhsa_group_segment_fixed_size 13200
		.amdhsa_private_segment_fixed_size 0
		.amdhsa_kernarg_size 104
		.amdhsa_user_sgpr_count 2
		.amdhsa_user_sgpr_dispatch_ptr 0
		.amdhsa_user_sgpr_queue_ptr 0
		.amdhsa_user_sgpr_kernarg_segment_ptr 1
		.amdhsa_user_sgpr_dispatch_id 0
		.amdhsa_user_sgpr_kernarg_preload_length 0
		.amdhsa_user_sgpr_kernarg_preload_offset 0
		.amdhsa_user_sgpr_private_segment_size 0
		.amdhsa_uses_dynamic_stack 0
		.amdhsa_enable_private_segment 0
		.amdhsa_system_sgpr_workgroup_id_x 1
		.amdhsa_system_sgpr_workgroup_id_y 0
		.amdhsa_system_sgpr_workgroup_id_z 0
		.amdhsa_system_sgpr_workgroup_info 0
		.amdhsa_system_vgpr_workitem_id 0
		.amdhsa_next_free_vgpr 271
		.amdhsa_next_free_sgpr 40
		.amdhsa_accum_offset 256
		.amdhsa_reserve_vcc 1
		.amdhsa_float_round_mode_32 0
		.amdhsa_float_round_mode_16_64 0
		.amdhsa_float_denorm_mode_32 3
		.amdhsa_float_denorm_mode_16_64 3
		.amdhsa_dx10_clamp 1
		.amdhsa_ieee_mode 1
		.amdhsa_fp16_overflow 0
		.amdhsa_tg_split 0
		.amdhsa_exception_fp_ieee_invalid_op 0
		.amdhsa_exception_fp_denorm_src 0
		.amdhsa_exception_fp_ieee_div_zero 0
		.amdhsa_exception_fp_ieee_overflow 0
		.amdhsa_exception_fp_ieee_underflow 0
		.amdhsa_exception_fp_ieee_inexact 0
		.amdhsa_exception_int_div_zero 0
	.end_amdhsa_kernel
	.text
.Lfunc_end0:
	.size	bluestein_single_back_len165_dim1_dp_op_CI_CI, .Lfunc_end0-bluestein_single_back_len165_dim1_dp_op_CI_CI
                                        ; -- End function
	.section	.AMDGPU.csdata,"",@progbits
; Kernel info:
; codeLenInByte = 21676
; NumSgprs: 46
; NumVgprs: 256
; NumAgprs: 15
; TotalNumVgprs: 271
; ScratchSize: 0
; MemoryBound: 0
; FloatMode: 240
; IeeeMode: 1
; LDSByteSize: 13200 bytes/workgroup (compile time only)
; SGPRBlocks: 5
; VGPRBlocks: 33
; NumSGPRsForWavesPerEU: 46
; NumVGPRsForWavesPerEU: 271
; AccumOffset: 256
; Occupancy: 1
; WaveLimiterHint : 1
; COMPUTE_PGM_RSRC2:SCRATCH_EN: 0
; COMPUTE_PGM_RSRC2:USER_SGPR: 2
; COMPUTE_PGM_RSRC2:TRAP_HANDLER: 0
; COMPUTE_PGM_RSRC2:TGID_X_EN: 1
; COMPUTE_PGM_RSRC2:TGID_Y_EN: 0
; COMPUTE_PGM_RSRC2:TGID_Z_EN: 0
; COMPUTE_PGM_RSRC2:TIDIG_COMP_CNT: 0
; COMPUTE_PGM_RSRC3_GFX90A:ACCUM_OFFSET: 63
; COMPUTE_PGM_RSRC3_GFX90A:TG_SPLIT: 0
	.text
	.p2alignl 6, 3212836864
	.fill 256, 4, 3212836864
	.type	__hip_cuid_bac96a77a09ab2ab,@object ; @__hip_cuid_bac96a77a09ab2ab
	.section	.bss,"aw",@nobits
	.globl	__hip_cuid_bac96a77a09ab2ab
__hip_cuid_bac96a77a09ab2ab:
	.byte	0                               ; 0x0
	.size	__hip_cuid_bac96a77a09ab2ab, 1

	.ident	"AMD clang version 19.0.0git (https://github.com/RadeonOpenCompute/llvm-project roc-6.4.0 25133 c7fe45cf4b819c5991fe208aaa96edf142730f1d)"
	.section	".note.GNU-stack","",@progbits
	.addrsig
	.addrsig_sym __hip_cuid_bac96a77a09ab2ab
	.amdgpu_metadata
---
amdhsa.kernels:
  - .agpr_count:     15
    .args:
      - .actual_access:  read_only
        .address_space:  global
        .offset:         0
        .size:           8
        .value_kind:     global_buffer
      - .actual_access:  read_only
        .address_space:  global
        .offset:         8
        .size:           8
        .value_kind:     global_buffer
      - .actual_access:  read_only
        .address_space:  global
        .offset:         16
        .size:           8
        .value_kind:     global_buffer
      - .actual_access:  read_only
        .address_space:  global
        .offset:         24
        .size:           8
        .value_kind:     global_buffer
      - .actual_access:  read_only
        .address_space:  global
        .offset:         32
        .size:           8
        .value_kind:     global_buffer
      - .offset:         40
        .size:           8
        .value_kind:     by_value
      - .address_space:  global
        .offset:         48
        .size:           8
        .value_kind:     global_buffer
      - .address_space:  global
        .offset:         56
        .size:           8
        .value_kind:     global_buffer
      - .address_space:  global
        .offset:         64
        .size:           8
        .value_kind:     global_buffer
      - .address_space:  global
        .offset:         72
        .size:           8
        .value_kind:     global_buffer
      - .offset:         80
        .size:           4
        .value_kind:     by_value
      - .address_space:  global
        .offset:         88
        .size:           8
        .value_kind:     global_buffer
      - .address_space:  global
        .offset:         96
        .size:           8
        .value_kind:     global_buffer
    .group_segment_fixed_size: 13200
    .kernarg_segment_align: 8
    .kernarg_segment_size: 104
    .language:       OpenCL C
    .language_version:
      - 2
      - 0
    .max_flat_workgroup_size: 55
    .name:           bluestein_single_back_len165_dim1_dp_op_CI_CI
    .private_segment_fixed_size: 0
    .sgpr_count:     46
    .sgpr_spill_count: 0
    .symbol:         bluestein_single_back_len165_dim1_dp_op_CI_CI.kd
    .uniform_work_group_size: 1
    .uses_dynamic_stack: false
    .vgpr_count:     271
    .vgpr_spill_count: 0
    .wavefront_size: 64
amdhsa.target:   amdgcn-amd-amdhsa--gfx950
amdhsa.version:
  - 1
  - 2
...

	.end_amdgpu_metadata
